;; amdgpu-corpus repo=ROCm/rocFFT kind=compiled arch=gfx1201 opt=O3
	.text
	.amdgcn_target "amdgcn-amd-amdhsa--gfx1201"
	.amdhsa_code_object_version 6
	.protected	fft_rtc_fwd_len936_factors_2_2_13_2_3_3_wgs_234_tpt_78_halfLds_half_op_CI_CI_sbrr_dirReg ; -- Begin function fft_rtc_fwd_len936_factors_2_2_13_2_3_3_wgs_234_tpt_78_halfLds_half_op_CI_CI_sbrr_dirReg
	.globl	fft_rtc_fwd_len936_factors_2_2_13_2_3_3_wgs_234_tpt_78_halfLds_half_op_CI_CI_sbrr_dirReg
	.p2align	8
	.type	fft_rtc_fwd_len936_factors_2_2_13_2_3_3_wgs_234_tpt_78_halfLds_half_op_CI_CI_sbrr_dirReg,@function
fft_rtc_fwd_len936_factors_2_2_13_2_3_3_wgs_234_tpt_78_halfLds_half_op_CI_CI_sbrr_dirReg: ; @fft_rtc_fwd_len936_factors_2_2_13_2_3_3_wgs_234_tpt_78_halfLds_half_op_CI_CI_sbrr_dirReg
; %bb.0:
	s_clause 0x1
	s_load_b128 s[12:15], s[0:1], 0x18
	s_load_b128 s[8:11], s[0:1], 0x0
	v_mul_u32_u24_e32 v1, 0x349, v0
	v_mov_b32_e32 v9, 0
	v_mov_b32_e32 v7, 0
	v_mov_b32_e32 v8, 0
	s_load_b128 s[4:7], s[0:1], 0x58
	s_wait_kmcnt 0x0
	s_load_b64 s[18:19], s[12:13], 0x0
	s_load_b64 s[16:17], s[14:15], 0x0
	v_lshrrev_b32_e32 v1, 16, v1
	v_cmp_lt_u64_e64 s2, s[10:11], 2
	s_delay_alu instid0(VALU_DEP_2) | instskip(SKIP_2) | instid1(VALU_DEP_4)
	v_mad_co_u64_u32 v[5:6], null, ttmp9, 3, v[1:2]
	v_dual_mov_b32 v6, v9 :: v_dual_mov_b32 v1, v7
	v_mov_b32_e32 v2, v8
	s_and_b32 vcc_lo, exec_lo, s2
	s_delay_alu instid0(VALU_DEP_2)
	v_dual_mov_b32 v3, v5 :: v_dual_mov_b32 v4, v6
	s_cbranch_vccnz .LBB0_8
; %bb.1:
	s_load_b64 s[2:3], s[0:1], 0x10
	v_dual_mov_b32 v7, 0 :: v_dual_mov_b32 v12, v6
	v_dual_mov_b32 v8, 0 :: v_dual_mov_b32 v11, v5
	s_delay_alu instid0(VALU_DEP_2) | instskip(SKIP_2) | instid1(VALU_DEP_2)
	v_mov_b32_e32 v1, v7
	s_add_nc_u64 s[20:21], s[14:15], 8
	s_add_nc_u64 s[22:23], s[12:13], 8
	v_mov_b32_e32 v2, v8
	s_mov_b64 s[24:25], 1
	s_wait_kmcnt 0x0
	s_add_nc_u64 s[26:27], s[2:3], 8
	s_mov_b32 s3, 0
.LBB0_2:                                ; =>This Inner Loop Header: Depth=1
	s_load_b64 s[28:29], s[26:27], 0x0
                                        ; implicit-def: $vgpr3_vgpr4
	s_mov_b32 s2, exec_lo
	s_wait_kmcnt 0x0
	v_or_b32_e32 v10, s29, v12
	s_delay_alu instid0(VALU_DEP_1)
	v_cmpx_ne_u64_e32 0, v[9:10]
	s_wait_alu 0xfffe
	s_xor_b32 s30, exec_lo, s2
	s_cbranch_execz .LBB0_4
; %bb.3:                                ;   in Loop: Header=BB0_2 Depth=1
	s_cvt_f32_u32 s2, s28
	s_cvt_f32_u32 s31, s29
	s_sub_nc_u64 s[36:37], 0, s[28:29]
	s_wait_alu 0xfffe
	s_delay_alu instid0(SALU_CYCLE_1) | instskip(SKIP_1) | instid1(SALU_CYCLE_2)
	s_fmamk_f32 s2, s31, 0x4f800000, s2
	s_wait_alu 0xfffe
	v_s_rcp_f32 s2, s2
	s_delay_alu instid0(TRANS32_DEP_1) | instskip(SKIP_1) | instid1(SALU_CYCLE_2)
	s_mul_f32 s2, s2, 0x5f7ffffc
	s_wait_alu 0xfffe
	s_mul_f32 s31, s2, 0x2f800000
	s_wait_alu 0xfffe
	s_delay_alu instid0(SALU_CYCLE_2) | instskip(SKIP_1) | instid1(SALU_CYCLE_2)
	s_trunc_f32 s31, s31
	s_wait_alu 0xfffe
	s_fmamk_f32 s2, s31, 0xcf800000, s2
	s_cvt_u32_f32 s35, s31
	s_wait_alu 0xfffe
	s_delay_alu instid0(SALU_CYCLE_1) | instskip(SKIP_1) | instid1(SALU_CYCLE_2)
	s_cvt_u32_f32 s34, s2
	s_wait_alu 0xfffe
	s_mul_u64 s[38:39], s[36:37], s[34:35]
	s_wait_alu 0xfffe
	s_mul_hi_u32 s41, s34, s39
	s_mul_i32 s40, s34, s39
	s_mul_hi_u32 s2, s34, s38
	s_mul_i32 s33, s35, s38
	s_wait_alu 0xfffe
	s_add_nc_u64 s[40:41], s[2:3], s[40:41]
	s_mul_hi_u32 s31, s35, s38
	s_mul_hi_u32 s42, s35, s39
	s_add_co_u32 s2, s40, s33
	s_wait_alu 0xfffe
	s_add_co_ci_u32 s2, s41, s31
	s_mul_i32 s38, s35, s39
	s_add_co_ci_u32 s39, s42, 0
	s_wait_alu 0xfffe
	s_add_nc_u64 s[38:39], s[2:3], s[38:39]
	s_wait_alu 0xfffe
	v_add_co_u32 v3, s2, s34, s38
	s_delay_alu instid0(VALU_DEP_1) | instskip(SKIP_1) | instid1(VALU_DEP_1)
	s_cmp_lg_u32 s2, 0
	s_add_co_ci_u32 s35, s35, s39
	v_readfirstlane_b32 s34, v3
	s_wait_alu 0xfffe
	s_delay_alu instid0(VALU_DEP_1)
	s_mul_u64 s[36:37], s[36:37], s[34:35]
	s_wait_alu 0xfffe
	s_mul_hi_u32 s39, s34, s37
	s_mul_i32 s38, s34, s37
	s_mul_hi_u32 s2, s34, s36
	s_mul_i32 s33, s35, s36
	s_wait_alu 0xfffe
	s_add_nc_u64 s[38:39], s[2:3], s[38:39]
	s_mul_hi_u32 s31, s35, s36
	s_mul_hi_u32 s34, s35, s37
	s_wait_alu 0xfffe
	s_add_co_u32 s2, s38, s33
	s_add_co_ci_u32 s2, s39, s31
	s_mul_i32 s36, s35, s37
	s_add_co_ci_u32 s37, s34, 0
	s_wait_alu 0xfffe
	s_add_nc_u64 s[36:37], s[2:3], s[36:37]
	s_wait_alu 0xfffe
	v_add_co_u32 v6, s2, v3, s36
	s_delay_alu instid0(VALU_DEP_1) | instskip(SKIP_1) | instid1(VALU_DEP_1)
	s_cmp_lg_u32 s2, 0
	s_add_co_ci_u32 s2, s35, s37
	v_mul_hi_u32 v10, v11, v6
	s_wait_alu 0xfffe
	v_mad_co_u64_u32 v[3:4], null, v11, s2, 0
	v_mad_co_u64_u32 v[13:14], null, v12, v6, 0
	;; [unrolled: 1-line block ×3, first 2 shown]
	s_delay_alu instid0(VALU_DEP_3) | instskip(SKIP_1) | instid1(VALU_DEP_4)
	v_add_co_u32 v3, vcc_lo, v10, v3
	s_wait_alu 0xfffd
	v_add_co_ci_u32_e32 v4, vcc_lo, 0, v4, vcc_lo
	s_delay_alu instid0(VALU_DEP_2) | instskip(SKIP_1) | instid1(VALU_DEP_2)
	v_add_co_u32 v3, vcc_lo, v3, v13
	s_wait_alu 0xfffd
	v_add_co_ci_u32_e32 v3, vcc_lo, v4, v14, vcc_lo
	s_wait_alu 0xfffd
	v_add_co_ci_u32_e32 v4, vcc_lo, 0, v16, vcc_lo
	s_delay_alu instid0(VALU_DEP_2) | instskip(SKIP_1) | instid1(VALU_DEP_2)
	v_add_co_u32 v6, vcc_lo, v3, v15
	s_wait_alu 0xfffd
	v_add_co_ci_u32_e32 v10, vcc_lo, 0, v4, vcc_lo
	s_delay_alu instid0(VALU_DEP_2) | instskip(SKIP_1) | instid1(VALU_DEP_3)
	v_mul_lo_u32 v13, s29, v6
	v_mad_co_u64_u32 v[3:4], null, s28, v6, 0
	v_mul_lo_u32 v14, s28, v10
	s_delay_alu instid0(VALU_DEP_2) | instskip(NEXT) | instid1(VALU_DEP_2)
	v_sub_co_u32 v3, vcc_lo, v11, v3
	v_add3_u32 v4, v4, v14, v13
	s_delay_alu instid0(VALU_DEP_1) | instskip(SKIP_1) | instid1(VALU_DEP_1)
	v_sub_nc_u32_e32 v13, v12, v4
	s_wait_alu 0xfffd
	v_subrev_co_ci_u32_e64 v13, s2, s29, v13, vcc_lo
	v_add_co_u32 v14, s2, v6, 2
	s_wait_alu 0xf1ff
	v_add_co_ci_u32_e64 v15, s2, 0, v10, s2
	v_sub_co_u32 v16, s2, v3, s28
	v_sub_co_ci_u32_e32 v4, vcc_lo, v12, v4, vcc_lo
	s_wait_alu 0xf1ff
	v_subrev_co_ci_u32_e64 v13, s2, 0, v13, s2
	s_delay_alu instid0(VALU_DEP_3) | instskip(NEXT) | instid1(VALU_DEP_3)
	v_cmp_le_u32_e32 vcc_lo, s28, v16
	v_cmp_eq_u32_e64 s2, s29, v4
	s_wait_alu 0xfffd
	v_cndmask_b32_e64 v16, 0, -1, vcc_lo
	v_cmp_le_u32_e32 vcc_lo, s29, v13
	s_wait_alu 0xfffd
	v_cndmask_b32_e64 v17, 0, -1, vcc_lo
	v_cmp_le_u32_e32 vcc_lo, s28, v3
	;; [unrolled: 3-line block ×3, first 2 shown]
	s_wait_alu 0xfffd
	v_cndmask_b32_e64 v18, 0, -1, vcc_lo
	v_cmp_eq_u32_e32 vcc_lo, s29, v13
	s_wait_alu 0xf1ff
	s_delay_alu instid0(VALU_DEP_2)
	v_cndmask_b32_e64 v3, v18, v3, s2
	s_wait_alu 0xfffd
	v_cndmask_b32_e32 v13, v17, v16, vcc_lo
	v_add_co_u32 v16, vcc_lo, v6, 1
	s_wait_alu 0xfffd
	v_add_co_ci_u32_e32 v17, vcc_lo, 0, v10, vcc_lo
	s_delay_alu instid0(VALU_DEP_3) | instskip(SKIP_1) | instid1(VALU_DEP_2)
	v_cmp_ne_u32_e32 vcc_lo, 0, v13
	s_wait_alu 0xfffd
	v_dual_cndmask_b32 v4, v17, v15 :: v_dual_cndmask_b32 v13, v16, v14
	v_cmp_ne_u32_e32 vcc_lo, 0, v3
	s_wait_alu 0xfffd
	s_delay_alu instid0(VALU_DEP_2) | instskip(NEXT) | instid1(VALU_DEP_3)
	v_cndmask_b32_e32 v4, v10, v4, vcc_lo
	v_cndmask_b32_e32 v3, v6, v13, vcc_lo
.LBB0_4:                                ;   in Loop: Header=BB0_2 Depth=1
	s_wait_alu 0xfffe
	s_and_not1_saveexec_b32 s2, s30
	s_cbranch_execz .LBB0_6
; %bb.5:                                ;   in Loop: Header=BB0_2 Depth=1
	v_cvt_f32_u32_e32 v3, s28
	s_sub_co_i32 s30, 0, s28
	s_delay_alu instid0(VALU_DEP_1) | instskip(NEXT) | instid1(TRANS32_DEP_1)
	v_rcp_iflag_f32_e32 v3, v3
	v_mul_f32_e32 v3, 0x4f7ffffe, v3
	s_delay_alu instid0(VALU_DEP_1) | instskip(SKIP_1) | instid1(VALU_DEP_1)
	v_cvt_u32_f32_e32 v3, v3
	s_wait_alu 0xfffe
	v_mul_lo_u32 v4, s30, v3
	s_delay_alu instid0(VALU_DEP_1) | instskip(NEXT) | instid1(VALU_DEP_1)
	v_mul_hi_u32 v4, v3, v4
	v_add_nc_u32_e32 v3, v3, v4
	s_delay_alu instid0(VALU_DEP_1) | instskip(NEXT) | instid1(VALU_DEP_1)
	v_mul_hi_u32 v3, v11, v3
	v_mul_lo_u32 v4, v3, s28
	v_add_nc_u32_e32 v6, 1, v3
	s_delay_alu instid0(VALU_DEP_2) | instskip(NEXT) | instid1(VALU_DEP_1)
	v_sub_nc_u32_e32 v4, v11, v4
	v_subrev_nc_u32_e32 v10, s28, v4
	v_cmp_le_u32_e32 vcc_lo, s28, v4
	s_wait_alu 0xfffd
	s_delay_alu instid0(VALU_DEP_2) | instskip(SKIP_1) | instid1(VALU_DEP_2)
	v_cndmask_b32_e32 v4, v4, v10, vcc_lo
	v_cndmask_b32_e32 v3, v3, v6, vcc_lo
	v_cmp_le_u32_e32 vcc_lo, s28, v4
	v_mov_b32_e32 v4, v9
	s_delay_alu instid0(VALU_DEP_3) | instskip(SKIP_1) | instid1(VALU_DEP_1)
	v_add_nc_u32_e32 v6, 1, v3
	s_wait_alu 0xfffd
	v_cndmask_b32_e32 v3, v3, v6, vcc_lo
.LBB0_6:                                ;   in Loop: Header=BB0_2 Depth=1
	s_wait_alu 0xfffe
	s_or_b32 exec_lo, exec_lo, s2
	v_mul_lo_u32 v6, v4, s28
	s_delay_alu instid0(VALU_DEP_2)
	v_mul_lo_u32 v10, v3, s29
	s_load_b64 s[30:31], s[22:23], 0x0
	v_mad_co_u64_u32 v[13:14], null, v3, s28, 0
	s_load_b64 s[28:29], s[20:21], 0x0
	s_add_nc_u64 s[24:25], s[24:25], 1
	s_add_nc_u64 s[20:21], s[20:21], 8
	s_wait_alu 0xfffe
	v_cmp_ge_u64_e64 s2, s[24:25], s[10:11]
	s_add_nc_u64 s[22:23], s[22:23], 8
	s_add_nc_u64 s[26:27], s[26:27], 8
	v_add3_u32 v6, v14, v10, v6
	v_sub_co_u32 v10, vcc_lo, v11, v13
	s_wait_alu 0xfffd
	s_delay_alu instid0(VALU_DEP_2) | instskip(SKIP_2) | instid1(VALU_DEP_1)
	v_sub_co_ci_u32_e32 v6, vcc_lo, v12, v6, vcc_lo
	s_and_b32 vcc_lo, exec_lo, s2
	s_wait_kmcnt 0x0
	v_mul_lo_u32 v11, s30, v6
	v_mul_lo_u32 v12, s31, v10
	v_mad_co_u64_u32 v[7:8], null, s30, v10, v[7:8]
	v_mul_lo_u32 v6, s28, v6
	v_mul_lo_u32 v13, s29, v10
	v_mad_co_u64_u32 v[1:2], null, s28, v10, v[1:2]
	s_delay_alu instid0(VALU_DEP_4) | instskip(NEXT) | instid1(VALU_DEP_2)
	v_add3_u32 v8, v12, v8, v11
	v_add3_u32 v2, v13, v2, v6
	s_wait_alu 0xfffe
	s_cbranch_vccnz .LBB0_8
; %bb.7:                                ;   in Loop: Header=BB0_2 Depth=1
	v_dual_mov_b32 v12, v4 :: v_dual_mov_b32 v11, v3
	s_branch .LBB0_2
.LBB0_8:
	s_load_b64 s[0:1], s[0:1], 0x28
	v_mul_hi_u32 v32, 0x3483484, v0
	s_lshl_b64 s[10:11], s[10:11], 3
                                        ; implicit-def: $sgpr2
                                        ; implicit-def: $vgpr16
                                        ; implicit-def: $vgpr6
                                        ; implicit-def: $vgpr23
                                        ; implicit-def: $vgpr24
                                        ; implicit-def: $vgpr11
                                        ; implicit-def: $vgpr14
	s_wait_kmcnt 0x0
	v_cmp_gt_u64_e32 vcc_lo, s[0:1], v[3:4]
	v_cmp_le_u64_e64 s0, s[0:1], v[3:4]
	s_delay_alu instid0(VALU_DEP_1)
	s_and_saveexec_b32 s1, s0
	s_wait_alu 0xfffe
	s_xor_b32 s0, exec_lo, s1
; %bb.9:
	v_mul_u32_u24_e32 v6, 0x4e, v32
	s_mov_b32 s2, 0
                                        ; implicit-def: $vgpr32
                                        ; implicit-def: $vgpr7_vgpr8
	s_delay_alu instid0(VALU_DEP_1) | instskip(NEXT) | instid1(VALU_DEP_1)
	v_sub_nc_u32_e32 v16, v0, v6
                                        ; implicit-def: $vgpr0
	v_add_nc_u32_e32 v6, 0x4e, v16
	v_add_nc_u32_e32 v23, 0x9c, v16
	;; [unrolled: 1-line block ×5, first 2 shown]
; %bb.10:
	s_wait_alu 0xfffe
	s_or_saveexec_b32 s1, s0
	v_dual_mov_b32 v9, s2 :: v_dual_mov_b32 v26, s2
	v_dual_mov_b32 v25, s2 :: v_dual_mov_b32 v20, s2
	v_mov_b32_e32 v17, s2
	v_mov_b32_e32 v15, s2
	s_add_nc_u64 s[2:3], s[14:15], s[10:11]
                                        ; implicit-def: $vgpr28
                                        ; implicit-def: $vgpr10
                                        ; implicit-def: $vgpr29
                                        ; implicit-def: $vgpr12
                                        ; implicit-def: $vgpr30
                                        ; implicit-def: $vgpr13
                                        ; implicit-def: $vgpr31
                                        ; implicit-def: $vgpr22
                                        ; implicit-def: $vgpr21
                                        ; implicit-def: $vgpr18
                                        ; implicit-def: $vgpr27
                                        ; implicit-def: $vgpr19
	s_wait_alu 0xfffe
	s_xor_b32 exec_lo, exec_lo, s1
	s_cbranch_execz .LBB0_12
; %bb.11:
	s_add_nc_u64 s[10:11], s[12:13], s[10:11]
	v_mul_u32_u24_e32 v6, 0x4e, v32
	s_load_b64 s[10:11], s[10:11], 0x0
	v_lshlrev_b64_e32 v[7:8], 2, v[7:8]
	s_delay_alu instid0(VALU_DEP_2) | instskip(NEXT) | instid1(VALU_DEP_1)
	v_sub_nc_u32_e32 v16, v0, v6
	v_mad_co_u64_u32 v[9:10], null, s18, v16, 0
	v_add_nc_u32_e32 v15, 0x1d4, v16
	v_add_nc_u32_e32 v6, 0x4e, v16
	;; [unrolled: 1-line block ×4, first 2 shown]
	v_dual_mov_b32 v0, v10 :: v_dual_add_nc_u32 v33, 0x30c, v16
	v_mad_co_u64_u32 v[13:14], null, s18, v15, 0
	s_wait_kmcnt 0x0
	v_mul_lo_u32 v10, s11, v3
	v_mul_lo_u32 v21, s10, v4
	v_mad_co_u64_u32 v[11:12], null, s10, v3, 0
	v_mad_co_u64_u32 v[17:18], null, s18, v6, 0
	;; [unrolled: 1-line block ×3, first 2 shown]
	v_dual_mov_b32 v0, v14 :: v_dual_add_nc_u32 v25, 0x270, v16
	s_delay_alu instid0(VALU_DEP_4) | instskip(SKIP_3) | instid1(VALU_DEP_4)
	v_add3_u32 v12, v12, v21, v10
	v_mad_co_u64_u32 v[20:21], null, s18, v24, 0
	v_mov_b32_e32 v14, v18
	v_mov_b32_e32 v10, v19
	v_lshlrev_b64_e32 v[11:12], 2, v[11:12]
	v_mad_co_u64_u32 v[18:19], null, s19, v15, v[0:1]
	s_delay_alu instid0(VALU_DEP_4) | instskip(SKIP_1) | instid1(VALU_DEP_4)
	v_mad_co_u64_u32 v[22:23], null, s19, v6, v[14:15]
	v_add_nc_u32_e32 v23, 0x9c, v16
	v_add_co_u32 v0, s0, s4, v11
	s_wait_alu 0xf1ff
	v_add_co_ci_u32_e64 v11, s0, s5, v12, s0
	v_mov_b32_e32 v14, v18
	s_delay_alu instid0(VALU_DEP_3)
	v_add_co_u32 v39, s0, v0, v7
	v_mov_b32_e32 v0, v21
	v_lshlrev_b64_e32 v[9:10], 2, v[9:10]
	s_wait_alu 0xf1ff
	v_add_co_ci_u32_e64 v40, s0, v11, v8, s0
	v_lshlrev_b64_e32 v[7:8], 2, v[13:14]
	v_mad_co_u64_u32 v[11:12], null, s18, v25, 0
	v_mad_co_u64_u32 v[13:14], null, s19, v24, v[0:1]
	;; [unrolled: 1-line block ×3, first 2 shown]
	v_add_co_u32 v9, s0, v39, v9
	s_wait_alu 0xf1ff
	v_add_co_ci_u32_e64 v10, s0, v40, v10, s0
	v_add_co_u32 v7, s0, v39, v7
	v_mov_b32_e32 v18, v22
	v_mov_b32_e32 v0, v12
	s_wait_alu 0xf1ff
	v_add_co_ci_u32_e64 v8, s0, v40, v8, s0
	v_dual_mov_b32 v21, v13 :: v_dual_mov_b32 v12, v15
	v_add_nc_u32_e32 v24, 0xea, v16
	s_clause 0x1
	global_load_b32 v9, v[9:10], off
	global_load_b32 v10, v[7:8], off
	v_lshlrev_b64_e32 v[7:8], 2, v[17:18]
	v_mad_co_u64_u32 v[17:18], null, s19, v25, v[0:1]
	v_lshlrev_b64_e32 v[18:19], 2, v[20:21]
	v_mad_co_u64_u32 v[20:21], null, s19, v23, v[12:13]
	v_mad_co_u64_u32 v[21:22], null, s18, v24, 0
	v_add_co_u32 v7, s0, v39, v7
	v_mov_b32_e32 v12, v17
	s_wait_alu 0xf1ff
	v_add_co_ci_u32_e64 v8, s0, v40, v8, s0
	v_add_co_u32 v17, s0, v39, v18
	v_mov_b32_e32 v0, v22
	s_wait_alu 0xf1ff
	v_add_co_ci_u32_e64 v18, s0, v40, v19, s0
	v_mov_b32_e32 v15, v20
	v_lshlrev_b64_e32 v[19:20], 2, v[11:12]
	v_mad_co_u64_u32 v[25:26], null, s18, v27, 0
	v_mad_co_u64_u32 v[11:12], null, s19, v24, v[0:1]
	global_load_b32 v12, v[17:18], off
	v_add_co_u32 v17, s0, v39, v19
	v_mad_co_u64_u32 v[29:30], null, s18, v33, 0
	v_mov_b32_e32 v0, v26
	v_dual_mov_b32 v22, v11 :: v_dual_add_nc_u32 v11, 0x138, v16
	s_wait_alu 0xf1ff
	v_add_co_ci_u32_e64 v18, s0, v40, v20, s0
	s_delay_alu instid0(VALU_DEP_3) | instskip(NEXT) | instid1(VALU_DEP_3)
	v_mad_co_u64_u32 v[19:20], null, s19, v27, v[0:1]
	v_mad_co_u64_u32 v[27:28], null, s18, v11, 0
	v_lshlrev_b64_e32 v[13:14], 2, v[14:15]
	v_mov_b32_e32 v0, v30
	s_delay_alu instid0(VALU_DEP_3) | instskip(SKIP_1) | instid1(VALU_DEP_4)
	v_dual_mov_b32 v26, v19 :: v_dual_mov_b32 v15, v28
	v_add_nc_u32_e32 v28, 0x35a, v16
	v_add_co_u32 v31, s0, v39, v13
	s_delay_alu instid0(VALU_DEP_4)
	v_mad_co_u64_u32 v[19:20], null, s19, v33, v[0:1]
	s_wait_alu 0xf1ff
	v_add_co_ci_u32_e64 v32, s0, v40, v14, s0
	global_load_b32 v13, v[17:18], off
	v_lshlrev_b64_e32 v[17:18], 2, v[21:22]
	v_add_nc_u32_e32 v14, 0x186, v16
	v_mad_co_u64_u32 v[20:21], null, s18, v28, 0
	v_mov_b32_e32 v30, v19
	s_delay_alu instid0(VALU_DEP_3) | instskip(SKIP_1) | instid1(VALU_DEP_4)
	v_mad_co_u64_u32 v[33:34], null, s18, v14, 0
	v_add_co_u32 v35, s0, v39, v17
	v_mov_b32_e32 v0, v21
	s_wait_alu 0xf1ff
	v_add_co_ci_u32_e64 v36, s0, v40, v18, s0
	v_lshlrev_b64_e32 v[17:18], 2, v[25:26]
	v_mad_co_u64_u32 v[21:22], null, s19, v11, v[15:16]
	v_mov_b32_e32 v15, v34
	v_mad_co_u64_u32 v[25:26], null, s19, v28, v[0:1]
	s_delay_alu instid0(VALU_DEP_4)
	v_add_co_u32 v17, s0, v39, v17
	s_wait_alu 0xf1ff
	v_add_co_ci_u32_e64 v18, s0, v40, v18, s0
	v_mov_b32_e32 v28, v21
	v_lshlrev_b64_e32 v[29:30], 2, v[29:30]
	v_mov_b32_e32 v21, v25
	v_mad_co_u64_u32 v[37:38], null, s19, v14, v[15:16]
	global_load_b32 v22, v[17:18], off
	v_lshlrev_b64_e32 v[17:18], 2, v[27:28]
	v_add_co_u32 v25, s0, v39, v29
	s_wait_alu 0xf1ff
	v_add_co_ci_u32_e64 v26, s0, v40, v30, s0
	v_mov_b32_e32 v34, v37
	v_lshlrev_b64_e32 v[19:20], 2, v[20:21]
	v_add_co_u32 v27, s0, v39, v17
	s_wait_alu 0xf1ff
	v_add_co_ci_u32_e64 v28, s0, v40, v18, s0
	global_load_b32 v18, v[25:26], off
	v_lshlrev_b64_e32 v[25:26], 2, v[33:34]
	v_add_co_u32 v19, s0, v39, v19
	s_wait_alu 0xf1ff
	v_add_co_ci_u32_e64 v20, s0, v40, v20, s0
	s_delay_alu instid0(VALU_DEP_3)
	v_add_co_u32 v29, s0, v39, v25
	s_wait_alu 0xf1ff
	v_add_co_ci_u32_e64 v30, s0, v40, v26, s0
	s_clause 0x5
	global_load_b32 v19, v[19:20], off
	global_load_b32 v25, v[7:8], off
	;; [unrolled: 1-line block ×6, first 2 shown]
	s_wait_loadcnt 0xa
	v_lshrrev_b32_e32 v28, 16, v10
	s_wait_loadcnt 0x9
	v_lshrrev_b32_e32 v29, 16, v12
	;; [unrolled: 2-line block ×6, first 2 shown]
.LBB0_12:
	s_or_b32 exec_lo, exec_lo, s1
	v_mul_hi_u32 v0, 0xaaaaaaab, v5
	v_lshrrev_b32_e32 v7, 16, v9
	s_wait_loadcnt 0x4
	v_lshrrev_b32_e32 v8, 16, v25
	v_sub_f16_e32 v32, v9, v10
	v_sub_f16_e32 v12, v25, v12
	s_wait_loadcnt 0x3
	v_lshrrev_b32_e32 v10, 16, v26
	v_sub_f16_e32 v28, v7, v28
	v_sub_f16_e32 v29, v8, v29
	v_lshrrev_b32_e32 v0, 1, v0
	v_sub_f16_e32 v13, v26, v13
	s_wait_loadcnt 0x2
	v_sub_f16_e32 v22, v20, v22
	v_fma_f16 v34, v7, 2.0, -v28
	v_fma_f16 v35, v8, 2.0, -v29
	v_lshl_add_u32 v0, v0, 1, v0
	s_wait_loadcnt 0x0
	v_lshrrev_b32_e32 v7, 16, v15
	v_sub_f16_e32 v18, v17, v18
	v_lshrrev_b32_e32 v33, 16, v20
	v_fma_f16 v9, v9, 2.0, -v32
	v_sub_nc_u32_e32 v0, v5, v0
	v_lshrrev_b32_e32 v5, 16, v17
	v_fma_f16 v25, v25, 2.0, -v12
	v_sub_f16_e32 v30, v10, v30
	v_fma_f16 v26, v26, 2.0, -v13
	v_mul_u32_u24_e32 v0, 0x3a8, v0
	v_fma_f16 v20, v20, 2.0, -v22
	v_sub_f16_e32 v37, v5, v21
	v_sub_f16_e32 v27, v7, v27
	v_fma_f16 v17, v17, 2.0, -v18
	v_lshlrev_b32_e32 v8, 1, v0
	v_sub_f16_e32 v0, v15, v19
	v_sub_f16_e32 v31, v33, v31
	v_fma_f16 v36, v10, 2.0, -v30
	v_fma_f16 v41, v5, 2.0, -v37
	v_add_nc_u32_e32 v45, 0, v8
	v_fma_f16 v15, v15, 2.0, -v0
	v_fma_f16 v42, v7, 2.0, -v27
	v_lshlrev_b32_e32 v10, 1, v16
	v_pack_b32_f16 v5, v9, v32
	v_lshl_add_u32 v43, v16, 2, v45
	v_lshl_add_u32 v32, v6, 2, v45
	v_pack_b32_f16 v7, v25, v12
	v_lshl_add_u32 v25, v23, 2, v45
	v_pack_b32_f16 v9, v26, v13
	;; [unrolled: 2-line block ×5, first 2 shown]
	v_fma_f16 v33, v33, 2.0, -v31
	ds_store_b32 v43, v5
	v_lshlrev_b32_e32 v5, 1, v6
	ds_store_b32 v32, v7
	v_lshlrev_b32_e32 v7, 1, v23
	;; [unrolled: 2-line block ×5, first 2 shown]
	ds_store_b32 v46, v0
	v_add_nc_u32_e32 v0, v45, v10
	v_pack_b32_f16 v28, v34, v28
	v_add3_u32 v17, 0, v10, v8
	v_pack_b32_f16 v29, v35, v29
	s_load_b64 s[2:3], s[2:3], 0x0
	global_wb scope:SCOPE_SE
	s_wait_dscnt 0x0
	s_wait_kmcnt 0x0
	s_barrier_signal -1
	s_barrier_wait -1
	global_inv scope:SCOPE_SE
	v_sub_nc_u32_e32 v18, v32, v5
	v_sub_nc_u32_e32 v19, v25, v7
	;; [unrolled: 1-line block ×5, first 2 shown]
	ds_load_u16 v61, v0
	ds_load_u16 v40, v17 offset:936
	ds_load_u16 v39, v17 offset:1092
	ds_load_u16 v38, v17 offset:1248
	ds_load_u16 v13, v17 offset:1404
	ds_load_u16 v12, v17 offset:1560
	ds_load_u16 v62, v19
	ds_load_u16 v63, v20
	;; [unrolled: 1-line block ×5, first 2 shown]
	ds_load_u16 v15, v17 offset:1716
	global_wb scope:SCOPE_SE
	s_wait_dscnt 0x0
	s_barrier_signal -1
	s_barrier_wait -1
	global_inv scope:SCOPE_SE
	ds_store_b32 v43, v28
	ds_store_b32 v32, v29
	v_pack_b32_f16 v28, v36, v30
	v_pack_b32_f16 v29, v33, v31
	v_and_b32_e32 v31, 1, v16
	v_pack_b32_f16 v30, v41, v37
	v_pack_b32_f16 v27, v42, v27
	ds_store_b32 v25, v28
	ds_store_b32 v26, v29
	;; [unrolled: 1-line block ×4, first 2 shown]
	v_lshlrev_b32_e32 v25, 2, v31
	global_wb scope:SCOPE_SE
	s_wait_dscnt 0x0
	s_barrier_signal -1
	s_barrier_wait -1
	global_inv scope:SCOPE_SE
	global_load_b32 v41, v25, s[8:9]
	v_and_or_b32 v29, 0x3fc, v47, v31
	ds_load_u16 v44, v0
	ds_load_u16 v59, v17 offset:936
	ds_load_u16 v56, v17 offset:1092
	;; [unrolled: 1-line block ×5, first 2 shown]
	ds_load_u16 v47, v18
	ds_load_u16 v52, v17 offset:1716
	v_and_or_b32 v25, 0xfc, v10, v31
	v_and_or_b32 v26, 0x1fc, v5, v31
	;; [unrolled: 1-line block ×5, first 2 shown]
	ds_load_u16 v48, v19
	ds_load_u16 v53, v20
	ds_load_u16 v54, v21
	ds_load_u16 v55, v22
	v_lshl_add_u32 v42, v25, 1, v45
	v_lshl_add_u32 v51, v26, 1, v45
	;; [unrolled: 1-line block ×6, first 2 shown]
	v_cmp_gt_u32_e64 s0, 0x48, v16
	global_wb scope:SCOPE_SE
	s_wait_loadcnt_dscnt 0x0
	s_barrier_signal -1
	s_barrier_wait -1
	global_inv scope:SCOPE_SE
                                        ; implicit-def: $vgpr37
	v_lshrrev_b32_e32 v60, 16, v41
	s_delay_alu instid0(VALU_DEP_1)
	v_mul_f16_e32 v25, v59, v60
	v_mul_f16_e32 v26, v56, v60
	;; [unrolled: 1-line block ×6, first 2 shown]
	v_fma_f16 v25, v40, v41, -v25
	v_fma_f16 v26, v39, v41, -v26
	;; [unrolled: 1-line block ×6, first 2 shown]
	v_sub_f16_e32 v31, v61, v25
	v_sub_f16_e32 v30, v66, v26
	;; [unrolled: 1-line block ×6, first 2 shown]
	v_fma_f16 v25, v61, 2.0, -v31
	v_fma_f16 v36, v66, 2.0, -v30
	;; [unrolled: 1-line block ×6, first 2 shown]
	ds_store_b16 v42, v25
	ds_store_b16 v42, v31 offset:4
	ds_store_b16 v51, v36
	ds_store_b16 v51, v30 offset:4
	;; [unrolled: 2-line block ×6, first 2 shown]
	global_wb scope:SCOPE_SE
	s_wait_dscnt 0x0
	s_barrier_signal -1
	s_barrier_wait -1
	global_inv scope:SCOPE_SE
	s_and_saveexec_b32 s1, s0
	s_cbranch_execz .LBB0_14
; %bb.13:
	ds_load_u16 v25, v0
	ds_load_u16 v31, v17 offset:144
	ds_load_u16 v36, v17 offset:288
	;; [unrolled: 1-line block ×12, first 2 shown]
.LBB0_14:
	s_wait_alu 0xfffe
	s_or_b32 exec_lo, exec_lo, s1
	v_mul_f16_e32 v40, v40, v60
	v_mul_f16_e32 v61, v39, v60
	;; [unrolled: 1-line block ×5, first 2 shown]
	v_fmac_f16_e32 v40, v59, v41
	v_mul_f16_e32 v15, v15, v60
	v_fmac_f16_e32 v61, v56, v41
	v_fmac_f16_e32 v38, v57, v41
	;; [unrolled: 1-line block ×3, first 2 shown]
	v_sub_f16_e32 v39, v44, v40
	v_fmac_f16_e32 v12, v43, v41
	v_fmac_f16_e32 v15, v52, v41
	v_sub_f16_e32 v43, v47, v61
	v_sub_f16_e32 v40, v48, v38
	v_fma_f16 v38, v44, 2.0, -v39
	v_sub_f16_e32 v44, v53, v13
	v_sub_f16_e32 v52, v54, v12
	;; [unrolled: 1-line block ×3, first 2 shown]
	v_fma_f16 v47, v47, 2.0, -v43
	v_fma_f16 v62, v48, 2.0, -v40
	;; [unrolled: 1-line block ×5, first 2 shown]
	global_wb scope:SCOPE_SE
	s_wait_dscnt 0x0
	s_barrier_signal -1
	s_barrier_wait -1
	global_inv scope:SCOPE_SE
	ds_store_b16 v42, v38
	ds_store_b16 v42, v39 offset:4
	ds_store_b16 v51, v47
	ds_store_b16 v51, v43 offset:4
	;; [unrolled: 2-line block ×6, first 2 shown]
	global_wb scope:SCOPE_SE
	s_wait_dscnt 0x0
	s_barrier_signal -1
	s_barrier_wait -1
	global_inv scope:SCOPE_SE
                                        ; implicit-def: $vgpr63
	s_and_saveexec_b32 s1, s0
	s_cbranch_execz .LBB0_16
; %bb.15:
	ds_load_u16 v38, v0
	ds_load_u16 v39, v17 offset:144
	ds_load_u16 v47, v17 offset:288
	;; [unrolled: 1-line block ×12, first 2 shown]
.LBB0_16:
	s_wait_alu 0xfffe
	s_or_b32 exec_lo, exec_lo, s1
	v_and_b32_e32 v12, 3, v16
	s_delay_alu instid0(VALU_DEP_1) | instskip(NEXT) | instid1(VALU_DEP_1)
	v_mul_u32_u24_e32 v13, 12, v12
	v_lshlrev_b32_e32 v13, 2, v13
	s_clause 0x2
	global_load_b128 v[64:67], v13, s[8:9] offset:8
	global_load_b128 v[68:71], v13, s[8:9] offset:24
	;; [unrolled: 1-line block ×3, first 2 shown]
	global_wb scope:SCOPE_SE
	s_wait_loadcnt_dscnt 0x0
	s_barrier_signal -1
	s_barrier_wait -1
	global_inv scope:SCOPE_SE
	v_lshrrev_b32_e32 v13, 16, v64
	v_lshrrev_b32_e32 v15, 16, v65
	;; [unrolled: 1-line block ×12, first 2 shown]
	v_mul_f16_e32 v77, v39, v13
	v_mul_f16_e32 v56, v31, v13
	;; [unrolled: 1-line block ×24, first 2 shown]
	v_fma_f16 v59, v31, v64, -v77
	v_fmac_f16_e32 v56, v39, v64
	v_fma_f16 v57, v36, v65, -v78
	v_fmac_f16_e32 v55, v47, v65
	;; [unrolled: 2-line block ×12, first 2 shown]
	v_lshrrev_b32_e32 v37, 2, v16
	s_and_saveexec_b32 s1, s0
	s_cbranch_execz .LBB0_18
; %bb.17:
	s_delay_alu instid0(VALU_DEP_2)
	v_sub_f16_e32 v28, v56, v54
	v_add_f16_e32 v27, v59, v60
	v_sub_f16_e32 v30, v55, v53
	v_add_f16_e32 v29, v57, v58
	v_sub_f16_e32 v32, v49, v50
	v_mul_f16_e32 v63, 0xb3a8, v28
	v_add_f16_e32 v31, v51, v52
	v_mul_f16_e32 v64, 0x3770, v30
	v_sub_f16_e32 v34, v45, v46
	v_sub_f16_e32 v36, v41, v42
	v_fmamk_f16 v71, v27, 0xbbc4, v63
	v_fma_f16 v63, v27, 0xbbc4, -v63
	v_mul_f16_e32 v65, 0xb94e, v32
	v_fmamk_f16 v73, v29, 0x3b15, v64
	v_fma_f16 v64, v29, 0x3b15, -v64
	v_add_f16_e32 v71, v25, v71
	v_add_f16_e32 v63, v25, v63
	;; [unrolled: 1-line block ×4, first 2 shown]
	v_mul_f16_e32 v66, 0x3a95, v34
	v_mul_f16_e32 v67, 0xbb7b, v36
	;; [unrolled: 1-line block ×3, first 2 shown]
	v_fmamk_f16 v74, v31, 0xb9fd, v65
	v_add_f16_e32 v71, v73, v71
	v_fma_f16 v65, v31, 0xb9fd, -v65
	v_add_f16_e32 v63, v64, v63
	v_sub_f16_e32 v62, v13, v15
	v_mul_f16_e32 v70, 0x3bf1, v30
	v_fmamk_f16 v75, v33, 0x388b, v66
	v_fmamk_f16 v73, v35, 0xb5ac, v67
	v_add_f16_e32 v71, v74, v71
	v_fma_f16 v66, v33, 0x388b, -v66
	v_add_f16_e32 v63, v65, v63
	v_fma_f16 v65, v35, 0xb5ac, -v67
	v_fmamk_f16 v67, v27, 0xb9fd, v69
	v_add_f16_e32 v61, v39, v40
	v_mul_f16_e32 v68, 0x3bf1, v62
	v_mul_f16_e32 v72, 0xba95, v32
	v_add_f16_e32 v71, v75, v71
	v_add_f16_e32 v63, v66, v63
	v_fmamk_f16 v66, v29, 0x2fb7, v70
	v_add_f16_e32 v67, v25, v67
	v_fmamk_f16 v64, v61, 0x2fb7, v68
	v_add_f16_e32 v71, v73, v71
	v_add_f16_e32 v63, v65, v63
	v_fma_f16 v65, v27, 0xb9fd, -v69
	v_add_f16_e32 v66, v66, v67
	v_fmamk_f16 v67, v31, 0x388b, v72
	v_mul_f16_e32 v69, 0x33a8, v34
	v_add_f16_e32 v64, v64, v71
	v_fma_f16 v68, v61, 0x2fb7, -v68
	v_add_f16_e32 v65, v25, v65
	v_fma_f16 v70, v29, 0x2fb7, -v70
	v_add_f16_e32 v66, v67, v66
	v_fmamk_f16 v67, v33, 0xbbc4, v69
	v_mul_f16_e32 v71, 0x3770, v36
	v_add_f16_e32 v63, v68, v63
	v_add_f16_e32 v65, v70, v65
	v_fma_f16 v68, v31, 0x388b, -v72
	v_add_f16_e32 v66, v67, v66
	v_fmamk_f16 v67, v35, 0x3b15, v71
	v_mul_f16_e32 v70, 0xbb7b, v28
	v_mul_f16_e32 v72, 0xbb7b, v62
	v_add_f16_e32 v65, v68, v65
	v_fma_f16 v68, v33, 0xbbc4, -v69
	v_add_f16_e32 v66, v67, v66
	v_fmamk_f16 v67, v27, 0xb5ac, v70
	v_mul_f16_e32 v69, 0x394e, v30
	v_mul_f16_e32 v74, 0x3770, v32
	v_add_f16_e32 v65, v68, v65
	v_fma_f16 v68, v35, 0x3b15, -v71
	v_add_f16_e32 v67, v25, v67
	v_fmamk_f16 v71, v29, 0xb9fd, v69
	v_fmamk_f16 v73, v61, 0xb5ac, v72
	v_fma_f16 v72, v61, 0xb5ac, -v72
	v_add_f16_e32 v65, v68, v65
	v_fma_f16 v68, v27, 0xb5ac, -v70
	v_add_f16_e32 v67, v71, v67
	v_fmamk_f16 v70, v31, 0x3b15, v74
	v_mul_f16_e32 v71, 0xbbf1, v34
	v_add_f16_e32 v66, v73, v66
	v_add_f16_e32 v68, v25, v68
	v_fma_f16 v69, v29, 0xb9fd, -v69
	v_add_f16_e32 v67, v70, v67
	v_fmamk_f16 v70, v33, 0x2fb7, v71
	v_mul_f16_e32 v73, 0x33a8, v36
	v_add_f16_e32 v65, v72, v65
	v_add_f16_e32 v68, v69, v68
	v_fma_f16 v69, v31, 0x3b15, -v74
	v_add_f16_e32 v67, v70, v67
	v_fmamk_f16 v70, v35, 0xbbc4, v73
	v_mul_f16_e32 v72, 0xbbf1, v28
	v_mul_f16_e32 v74, 0x3a95, v62
	v_add_f16_e32 v68, v69, v68
	v_fma_f16 v69, v33, 0x2fb7, -v71
	v_add_f16_e32 v67, v70, v67
	v_fmamk_f16 v70, v27, 0x2fb7, v72
	v_mul_f16_e32 v71, 0xb3a8, v30
	v_mul_f16_e32 v76, 0x3b7b, v32
	v_add_f16_e32 v68, v69, v68
	v_fma_f16 v69, v35, 0xbbc4, -v73
	v_add_f16_e32 v70, v25, v70
	v_fmamk_f16 v73, v29, 0xbbc4, v71
	v_fmamk_f16 v75, v61, 0x388b, v74
	v_fma_f16 v74, v61, 0x388b, -v74
	v_add_f16_e32 v68, v69, v68
	v_fma_f16 v69, v27, 0x2fb7, -v72
	v_add_f16_e32 v70, v73, v70
	v_fmamk_f16 v72, v31, 0xb5ac, v76
	v_mul_f16_e32 v73, 0x3770, v34
	v_add_f16_e32 v67, v75, v67
	v_add_f16_e32 v69, v25, v69
	v_fma_f16 v71, v29, 0xbbc4, -v71
	v_add_f16_e32 v70, v72, v70
	v_fmamk_f16 v72, v33, 0x3b15, v73
	v_mul_f16_e32 v75, 0xba95, v36
	v_add_f16_e32 v68, v74, v68
	;; [unrolled: 6-line block ×4, first 2 shown]
	v_mul_f16_e32 v76, 0xb94e, v62
	v_add_f16_e32 v69, v71, v69
	v_fma_f16 v71, v35, 0x388b, -v75
	v_add_f16_e32 v72, v25, v72
	v_fmamk_f16 v75, v29, 0xb5ac, v73
	v_mul_f16_e32 v78, 0xb3a8, v32
	v_add_f16_e32 v26, v26, v51
	v_fmamk_f16 v77, v61, 0xb9fd, v76
	v_add_f16_e32 v69, v71, v69
	v_fma_f16 v71, v27, 0x388b, -v74
	v_add_f16_e32 v72, v75, v72
	v_fmamk_f16 v74, v31, 0xbbc4, v78
	v_mul_f16_e32 v75, 0x394e, v34
	v_add_f16_e32 v26, v26, v47
	v_add_f16_e32 v70, v77, v70
	v_add_f16_e32 v71, v25, v71
	v_fma_f16 v73, v29, 0xb5ac, -v73
	v_add_f16_e32 v72, v74, v72
	v_fmamk_f16 v74, v33, 0xb9fd, v75
	v_mul_f16_e32 v77, 0x3bf1, v36
	v_add_f16_e32 v26, v26, v43
	v_add_f16_e32 v71, v73, v71
	v_fma_f16 v73, v31, 0xbbc4, -v78
	v_add_f16_e32 v72, v74, v72
	v_fmamk_f16 v74, v35, 0x2fb7, v77
	v_mul_f16_e32 v28, 0xb770, v28
	v_add_f16_e32 v26, v26, v39
	v_add_f16_e32 v71, v73, v71
	v_fma_f16 v73, v33, 0xb9fd, -v75
	v_add_f16_e32 v72, v74, v72
	v_fma_f16 v74, v27, 0x3b15, -v28
	v_mul_f16_e32 v30, 0xba95, v30
	v_add_f16_e32 v26, v26, v40
	v_add_f16_e32 v71, v73, v71
	v_fmamk_f16 v27, v27, 0x3b15, v28
	v_add_f16_e32 v28, v25, v74
	v_fma_f16 v73, v29, 0x388b, -v30
	v_mul_f16_e32 v32, 0xbbf1, v32
	v_add_f16_e32 v26, v26, v44
	v_add_f16_e32 v25, v25, v27
	v_fmamk_f16 v27, v29, 0x388b, v30
	;; [unrolled: 6-line block ×3, first 2 shown]
	v_add_f16_e32 v28, v29, v28
	v_fma_f16 v29, v33, 0xb5ac, -v30
	v_mul_f16_e32 v31, 0xb94e, v36
	v_mul_u32_u24_e32 v32, 52, v37
	v_fma_f16 v76, v61, 0xb9fd, -v76
	v_add_f16_e32 v26, v26, v52
	v_add_f16_e32 v25, v27, v25
	v_fmamk_f16 v27, v33, 0xb5ac, v30
	v_add_f16_e32 v28, v29, v28
	v_fma_f16 v29, v35, 0xb9fd, -v31
	v_or_b32_e32 v30, v32, v12
	v_mul_f16_e32 v32, 0xb3a8, v62
	v_add_f16_e32 v69, v76, v69
	v_mul_f16_e32 v76, 0x3770, v62
	v_fma_f16 v74, v35, 0x2fb7, -v77
	v_add_f16_e32 v26, v26, v58
	v_add_f16_e32 v25, v27, v25
	v_fmamk_f16 v27, v35, 0xb9fd, v31
	v_add_f16_e32 v28, v29, v28
	v_lshlrev_b32_e32 v29, 1, v30
	v_fma_f16 v30, v61, 0xbbc4, -v32
	v_add_f16_e32 v34, v74, v71
	v_fma_f16 v31, v61, 0x3b15, -v76
	v_add_f16_e32 v26, v26, v60
	v_fmamk_f16 v75, v61, 0x3b15, v76
	v_add_f16_e32 v25, v27, v25
	v_fmamk_f16 v27, v61, 0xbbc4, v32
	v_add3_u32 v29, 0, v29, v8
	v_add_f16_e32 v28, v30, v28
	v_add_f16_e32 v30, v31, v34
	;; [unrolled: 1-line block ×4, first 2 shown]
	ds_store_b16 v29, v26
	ds_store_b16 v29, v28 offset:8
	ds_store_b16 v29, v30 offset:16
	;; [unrolled: 1-line block ×12, first 2 shown]
.LBB0_18:
	s_wait_alu 0xfffe
	s_or_b32 exec_lo, exec_lo, s1
	global_wb scope:SCOPE_SE
	s_wait_dscnt 0x0
	s_barrier_signal -1
	s_barrier_wait -1
	global_inv scope:SCOPE_SE
	ds_load_u16 v30, v0
	ds_load_u16 v36, v17 offset:936
	ds_load_u16 v31, v17 offset:1092
	;; [unrolled: 1-line block ×5, first 2 shown]
	ds_load_u16 v28, v19
	ds_load_u16 v27, v20
	;; [unrolled: 1-line block ×5, first 2 shown]
	ds_load_u16 v35, v17 offset:1716
	global_wb scope:SCOPE_SE
	s_wait_dscnt 0x0
	s_barrier_signal -1
	s_barrier_wait -1
	global_inv scope:SCOPE_SE
	s_and_saveexec_b32 s1, s0
	s_cbranch_execz .LBB0_20
; %bb.19:
	v_add_f16_e32 v61, v38, v56
	v_sub_f16_e32 v59, v59, v60
	v_add_f16_e32 v60, v55, v53
	v_add_f16_e32 v56, v56, v54
	v_sub_f16_e32 v57, v57, v58
	v_add_f16_e32 v55, v61, v55
	v_mul_f16_e32 v58, 0xb770, v59
	v_mul_f16_e32 v61, 0xba95, v59
	;; [unrolled: 1-line block ×4, first 2 shown]
	v_add_f16_e32 v55, v55, v49
	v_mul_f16_e32 v64, 0xb94e, v59
	v_mul_f16_e32 v59, 0xb3a8, v59
	;; [unrolled: 1-line block ×4, first 2 shown]
	v_add_f16_e32 v55, v55, v45
	v_fmamk_f16 v69, v56, 0x3b15, v58
	v_fma_f16 v58, v56, 0x3b15, -v58
	v_fmamk_f16 v70, v56, 0x388b, v61
	v_fma_f16 v61, v56, 0x388b, -v61
	v_add_f16_e32 v55, v55, v41
	v_mul_f16_e32 v67, 0xb3a8, v57
	v_mul_f16_e32 v68, 0x394e, v57
	v_fmamk_f16 v71, v56, 0x2fb7, v62
	v_fma_f16 v62, v56, 0x2fb7, -v62
	v_add_f16_e32 v55, v55, v13
	v_fmamk_f16 v72, v56, 0xb5ac, v63
	v_fma_f16 v63, v56, 0xb5ac, -v63
	v_fmamk_f16 v73, v56, 0xb9fd, v64
	v_fma_f16 v64, v56, 0xb9fd, -v64
	v_add_f16_e32 v55, v55, v15
	v_fmamk_f16 v74, v56, 0xbbc4, v59
	v_fma_f16 v56, v56, 0xbbc4, -v59
	;; [unrolled: 5-line block ×3, first 2 shown]
	v_add_f16_e32 v69, v38, v69
	v_add_f16_e32 v58, v38, v58
	;; [unrolled: 1-line block ×17, first 2 shown]
	v_fmamk_f16 v59, v60, 0xbbc4, v67
	v_add_f16_e32 v61, v66, v61
	v_fma_f16 v65, v60, 0xbbc4, -v67
	v_fmamk_f16 v66, v60, 0xb9fd, v68
	v_fma_f16 v67, v60, 0xb9fd, -v68
	v_mul_f16_e32 v68, 0x3bf1, v57
	v_sub_f16_e32 v51, v51, v52
	v_add_f16_e32 v62, v65, v62
	v_add_f16_e32 v65, v66, v72
	v_mul_f16_e32 v57, 0x3770, v57
	v_fma_f16 v66, v60, 0x2fb7, -v68
	v_add_f16_e32 v49, v49, v50
	v_mul_f16_e32 v50, 0xbbf1, v51
	v_add_f16_e32 v63, v67, v63
	v_fmamk_f16 v52, v60, 0x2fb7, v68
	v_fmamk_f16 v67, v60, 0x3b15, v57
	v_fma_f16 v57, v60, 0x3b15, -v57
	v_add_f16_e32 v60, v66, v64
	v_fmamk_f16 v64, v49, 0x2fb7, v50
	v_mul_f16_e32 v66, 0xb3a8, v51
	v_add_f16_e32 v53, v53, v54
	v_add_f16_e32 v54, v75, v70
	;; [unrolled: 1-line block ×4, first 2 shown]
	v_fmamk_f16 v57, v49, 0xbbc4, v66
	v_mul_f16_e32 v64, 0x3b7b, v51
	v_add_f16_e32 v59, v59, v71
	v_fma_f16 v50, v49, 0x2fb7, -v50
	v_sub_f16_e32 v47, v47, v48
	v_add_f16_e32 v54, v57, v54
	v_fmamk_f16 v57, v49, 0xb5ac, v64
	v_add_f16_e32 v52, v52, v73
	v_fma_f16 v66, v49, 0xbbc4, -v66
	v_add_f16_e32 v50, v50, v58
	v_mul_f16_e32 v58, 0x3770, v51
	v_add_f16_e32 v57, v57, v59
	v_mul_f16_e32 v59, 0xba95, v51
	v_mul_f16_e32 v51, 0xb94e, v51
	v_add_f16_e32 v45, v45, v46
	v_mul_f16_e32 v46, 0xbb7b, v47
	v_add_f16_e32 v55, v67, v55
	v_fmamk_f16 v48, v49, 0x388b, v59
	v_fma_f16 v59, v49, 0x388b, -v59
	v_add_f16_e32 v61, v66, v61
	v_fma_f16 v64, v49, 0xb5ac, -v64
	v_fmamk_f16 v66, v49, 0x3b15, v58
	v_fma_f16 v58, v49, 0x3b15, -v58
	v_add_f16_e32 v48, v48, v52
	v_fmamk_f16 v52, v49, 0xb9fd, v51
	v_fma_f16 v49, v49, 0xb9fd, -v51
	v_add_f16_e32 v51, v59, v60
	v_fmamk_f16 v59, v45, 0xb5ac, v46
	v_mul_f16_e32 v60, 0x394e, v47
	v_add_f16_e32 v52, v52, v55
	v_add_f16_e32 v38, v49, v38
	v_fma_f16 v46, v45, 0xb5ac, -v46
	v_add_f16_e32 v49, v59, v56
	v_fmamk_f16 v55, v45, 0xb9fd, v60
	v_mul_f16_e32 v56, 0x3770, v47
	v_sub_f16_e32 v43, v43, v44
	v_add_f16_e32 v46, v46, v50
	v_mul_f16_e32 v50, 0xbbf1, v47
	v_add_f16_e32 v54, v55, v54
	v_fmamk_f16 v55, v45, 0x3b15, v56
	v_add_f16_e32 v41, v41, v42
	v_mul_f16_e32 v42, 0xb94e, v43
	v_fma_f16 v59, v45, 0xb9fd, -v60
	v_fma_f16 v56, v45, 0x3b15, -v56
	v_add_f16_e32 v55, v55, v57
	v_mul_f16_e32 v57, 0x33a8, v47
	v_mul_f16_e32 v47, 0x3a95, v47
	v_fmamk_f16 v60, v45, 0x2fb7, v50
	v_fma_f16 v50, v45, 0x2fb7, -v50
	v_add_f16_e32 v58, v58, v63
	v_fmamk_f16 v44, v45, 0xbbc4, v57
	v_fma_f16 v57, v45, 0xbbc4, -v57
	v_add_f16_e32 v62, v64, v62
	v_sub_f16_e32 v39, v39, v40
	v_add_f16_e32 v50, v50, v58
	v_add_f16_e32 v44, v44, v48
	v_fmamk_f16 v48, v45, 0x388b, v47
	v_fma_f16 v45, v45, 0x388b, -v47
	v_add_f16_e32 v47, v57, v51
	v_fmamk_f16 v51, v41, 0xb9fd, v42
	v_fma_f16 v42, v41, 0xb9fd, -v42
	v_mul_f16_e32 v57, 0x3bf1, v43
	v_add_f16_e32 v48, v48, v52
	v_add_f16_e32 v38, v45, v38
	;; [unrolled: 1-line block ×4, first 2 shown]
	v_mul_f16_e32 v46, 0x33a8, v43
	v_fmamk_f16 v49, v41, 0x2fb7, v57
	v_mul_f16_e32 v51, 0xba95, v43
	v_fma_f16 v52, v41, 0x2fb7, -v57
	v_mul_f16_e32 v58, 0x3770, v43
	v_fmamk_f16 v57, v41, 0xbbc4, v46
	v_fma_f16 v46, v41, 0xbbc4, -v46
	v_mul_f16_e32 v43, 0xbb7b, v43
	v_add_f16_e32 v56, v56, v62
	v_add_f16_e32 v49, v49, v54
	v_fmamk_f16 v54, v41, 0x388b, v51
	v_fma_f16 v51, v41, 0x388b, -v51
	v_add_f16_e32 v46, v46, v50
	v_fma_f16 v40, v41, 0x3b15, -v58
	v_fmamk_f16 v50, v41, 0xb5ac, v43
	v_add_f16_e32 v13, v13, v15
	v_mul_f16_e32 v15, 0xb3a8, v39
	v_add_f16_e32 v51, v51, v56
	v_fmamk_f16 v56, v41, 0x3b15, v58
	v_add_f16_e32 v40, v40, v47
	v_fma_f16 v41, v41, 0xb5ac, -v43
	v_mul_f16_e32 v43, 0x3770, v39
	v_add_f16_e32 v47, v50, v48
	v_fmamk_f16 v48, v13, 0xbbc4, v15
	v_mul_u32_u24_e32 v37, 52, v37
	v_add_f16_e32 v64, v66, v65
	v_fma_f16 v15, v13, 0xbbc4, -v15
	v_add_f16_e32 v38, v41, v38
	v_fmamk_f16 v41, v13, 0x3b15, v43
	v_mul_f16_e32 v50, 0xb94e, v39
	v_add_f16_e32 v45, v48, v45
	v_mul_f16_e32 v48, 0x3a95, v39
	v_or_b32_e32 v12, v37, v12
	v_add_f16_e32 v60, v60, v64
	v_add_f16_e32 v59, v59, v61
	;; [unrolled: 1-line block ×3, first 2 shown]
	v_fma_f16 v42, v13, 0x3b15, -v43
	v_add_f16_e32 v41, v41, v49
	v_fmamk_f16 v43, v13, 0xb9fd, v50
	v_fma_f16 v49, v13, 0xb9fd, -v50
	v_fmamk_f16 v50, v13, 0x388b, v48
	v_fma_f16 v48, v13, 0x388b, -v48
	v_mul_f16_e32 v37, 0xbb7b, v39
	v_mul_f16_e32 v39, 0x3bf1, v39
	v_lshlrev_b32_e32 v12, 1, v12
	v_add_f16_e32 v54, v54, v55
	v_add_f16_e32 v55, v57, v60
	;; [unrolled: 1-line block ×6, first 2 shown]
	v_fmamk_f16 v48, v13, 0xb5ac, v37
	v_fma_f16 v37, v13, 0xb5ac, -v37
	v_fmamk_f16 v51, v13, 0x2fb7, v39
	v_fma_f16 v13, v13, 0x2fb7, -v39
	v_add3_u32 v12, 0, v12, v8
	v_add_f16_e32 v43, v43, v54
	v_add_f16_e32 v50, v50, v55
	;; [unrolled: 1-line block ×7, first 2 shown]
	ds_store_b16 v12, v53
	ds_store_b16 v12, v45 offset:8
	ds_store_b16 v12, v41 offset:16
	;; [unrolled: 1-line block ×12, first 2 shown]
.LBB0_20:
	s_wait_alu 0xfffe
	s_or_b32 exec_lo, exec_lo, s1
	v_subrev_nc_u32_e32 v12, 52, v16
	v_cmp_gt_u32_e64 s0, 52, v16
	v_and_b32_e32 v15, 0xff, v6
	v_and_b32_e32 v39, 0xff, v23
	;; [unrolled: 1-line block ×3, first 2 shown]
	v_dual_mov_b32 v13, 0 :: v_dual_and_b32 v40, 0xffff, v24
	s_wait_alu 0xf1ff
	v_cndmask_b32_e64 v12, v12, v16, s0
	v_and_b32_e32 v42, 0xffff, v14
	v_mul_lo_u16 v15, 0x4f, v15
	v_mul_lo_u16 v39, 0x4f, v39
	v_mul_u32_u24_e32 v41, 0x4ec5, v41
	v_mul_u32_u24_e32 v40, 0x4ec5, v40
	v_lshlrev_b64_e32 v[37:38], 2, v[12:13]
	v_mul_u32_u24_e32 v42, 0x4ec5, v42
	v_lshrrev_b16 v15, 12, v15
	v_lshrrev_b16 v43, 12, v39
	v_lshrrev_b32_e32 v41, 20, v41
	v_lshrrev_b32_e32 v44, 20, v40
	v_add_co_u32 v37, s0, s8, v37
	v_lshrrev_b32_e32 v42, 20, v42
	v_mul_lo_u16 v45, v15, 52
	s_wait_alu 0xf1ff
	v_add_co_ci_u32_e64 v38, s0, s9, v38, s0
	v_mul_lo_u16 v46, v43, 52
	v_mul_lo_u16 v48, v41, 52
	v_mul_lo_u16 v47, v44, 52
	v_mul_lo_u16 v49, v42, 52
	v_sub_nc_u16 v45, v6, v45
	global_wb scope:SCOPE_SE
	s_wait_dscnt 0x0
	s_barrier_signal -1
	s_barrier_wait -1
	global_inv scope:SCOPE_SE
	v_sub_nc_u16 v46, v23, v46
	v_sub_nc_u16 v11, v11, v48
	global_load_b32 v48, v[37:38], off offset:200
	v_sub_nc_u16 v47, v24, v47
	v_sub_nc_u16 v14, v14, v49
	v_and_b32_e32 v45, 0xff, v45
	v_and_b32_e32 v46, 0xff, v46
	;; [unrolled: 1-line block ×5, first 2 shown]
	v_lshlrev_b32_e32 v11, 2, v45
	v_lshlrev_b32_e32 v14, 2, v46
	;; [unrolled: 1-line block ×5, first 2 shown]
	s_clause 0x4
	global_load_b32 v52, v11, s[8:9] offset:200
	global_load_b32 v53, v14, s[8:9] offset:200
	;; [unrolled: 1-line block ×5, first 2 shown]
	v_mov_b32_e32 v11, v13
	v_cmp_lt_u32_e64 s0, 51, v16
	v_subrev_nc_u32_e32 v14, 26, v16
	ds_load_u16 v56, v0
	ds_load_u16 v57, v17 offset:936
	ds_load_u16 v58, v17 offset:1092
	;; [unrolled: 1-line block ×5, first 2 shown]
	ds_load_u16 v62, v19
	ds_load_u16 v63, v20
	;; [unrolled: 1-line block ×4, first 2 shown]
	v_and_b32_e32 v43, 0xffff, v43
	v_lshlrev_b64_e32 v[10:11], 2, v[10:11]
	s_wait_alu 0xf1ff
	v_cndmask_b32_e64 v37, 0, 0xd0, s0
	v_cmp_gt_u32_e64 s0, 26, v16
	v_and_b32_e32 v68, 0xffff, v15
	ds_load_u16 v66, v18
	ds_load_u16 v67, v17 offset:1716
	v_mad_u32_u24 v43, 0xd0, v43, 0
	v_mad_u32_u24 v44, 0xd0, v44, 0
	s_wait_alu 0xf1ff
	v_cndmask_b32_e64 v6, v14, v6, s0
	v_add_nc_u32_e32 v14, 0, v37
	v_lshlrev_b32_e32 v37, 1, v12
	v_mad_u32_u24 v41, 0xd0, v41, 0
	v_mad_u32_u24 v42, 0xd0, v42, 0
	v_lshlrev_b32_e32 v12, 1, v6
	v_lshrrev_b16 v6, 13, v39
	v_lshrrev_b32_e32 v39, 21, v40
	v_add3_u32 v40, v14, v37, v8
	v_add_co_u32 v14, s0, s8, v10
	s_delay_alu instid0(VALU_DEP_4) | instskip(NEXT) | instid1(VALU_DEP_4)
	v_mul_lo_u16 v69, 0x68, v6
	v_mul_lo_u16 v39, 0x68, v39
	v_lshlrev_b64_e32 v[37:38], 2, v[12:13]
	s_wait_alu 0xf1ff
	v_add_co_ci_u32_e64 v15, s0, s9, v11, s0
	v_sub_nc_u16 v23, v23, v69
	v_sub_nc_u16 v24, v24, v39
	v_lshlrev_b32_e32 v39, 1, v47
	v_add_co_u32 v10, s0, s8, v37
	s_wait_alu 0xf1ff
	v_add_co_ci_u32_e64 v11, s0, s9, v38, s0
	v_and_b32_e32 v37, 0xff, v23
	v_and_b32_e32 v38, 0xffff, v24
	v_lshlrev_b32_e32 v23, 1, v45
	v_lshlrev_b32_e32 v24, 1, v46
	;; [unrolled: 1-line block ×4, first 2 shown]
	v_add3_u32 v39, v44, v39, v8
	v_mad_u32_u24 v68, 0xd0, v68, 0
	v_add3_u32 v24, v43, v24, v8
	v_add3_u32 v41, v41, v45, v8
	;; [unrolled: 1-line block ×3, first 2 shown]
	global_wb scope:SCOPE_SE
	s_wait_loadcnt_dscnt 0x0
	v_add3_u32 v23, v68, v23, v8
	s_barrier_signal -1
	s_barrier_wait -1
	global_inv scope:SCOPE_SE
	v_lshlrev_b32_e32 v47, 3, v37
	v_cmp_lt_u32_e64 s0, 25, v16
	v_and_b32_e32 v6, 0xffff, v6
	s_delay_alu instid0(VALU_DEP_1) | instskip(SKIP_1) | instid1(VALU_DEP_1)
	v_mad_u32_u24 v6, 0x270, v6, 0
	v_lshrrev_b32_e32 v49, 16, v48
	v_mul_f16_e32 v43, v57, v49
	v_mul_f16_e32 v49, v36, v49
	s_delay_alu instid0(VALU_DEP_2)
	v_fma_f16 v36, v36, v48, -v43
	v_lshrrev_b32_e32 v43, 16, v52
	v_lshrrev_b32_e32 v44, 16, v53
	v_lshrrev_b32_e32 v45, 16, v54
	v_fmac_f16_e32 v49, v57, v48
	v_lshrrev_b32_e32 v46, 16, v55
	v_lshrrev_b32_e32 v48, 16, v51
	v_sub_f16_e32 v36, v30, v36
	v_mul_f16_e32 v50, v58, v43
	v_mul_f16_e32 v43, v31, v43
	;; [unrolled: 1-line block ×10, first 2 shown]
	v_fma_f16 v30, v30, 2.0, -v36
	v_fma_f16 v31, v31, v52, -v50
	v_fmac_f16_e32 v43, v58, v52
	v_fma_f16 v32, v32, v53, -v57
	v_fmac_f16_e32 v44, v59, v53
	v_fma_f16 v33, v33, v54, -v68
	v_sub_f16_e32 v49, v56, v49
	v_fmac_f16_e32 v45, v60, v54
	v_fma_f16 v34, v34, v55, -v69
	v_fmac_f16_e32 v46, v61, v55
	v_fma_f16 v35, v35, v51, -v70
	v_fmac_f16_e32 v48, v67, v51
	ds_store_b16 v40, v30
	ds_store_b16 v40, v36 offset:104
	v_sub_f16_e32 v30, v29, v31
	v_sub_f16_e32 v31, v66, v43
	;; [unrolled: 1-line block ×5, first 2 shown]
	v_fma_f16 v56, v56, 2.0, -v49
	v_sub_f16_e32 v43, v63, v45
	v_sub_f16_e32 v34, v26, v34
	;; [unrolled: 1-line block ×5, first 2 shown]
	v_fma_f16 v29, v29, 2.0, -v30
	v_fma_f16 v46, v66, 2.0, -v31
	;; [unrolled: 1-line block ×10, first 2 shown]
	ds_store_b16 v23, v29
	ds_store_b16 v23, v30 offset:104
	ds_store_b16 v24, v28
	ds_store_b16 v24, v32 offset:104
	;; [unrolled: 2-line block ×5, first 2 shown]
	global_wb scope:SCOPE_SE
	s_wait_dscnt 0x0
	s_barrier_signal -1
	s_barrier_wait -1
	global_inv scope:SCOPE_SE
	ds_load_u16 v29, v22
	ds_load_u16 v30, v19
	;; [unrolled: 1-line block ×3, first 2 shown]
	ds_load_u16 v33, v17 offset:936
	ds_load_u16 v34, v17 offset:1404
	;; [unrolled: 1-line block ×3, first 2 shown]
	ds_load_u16 v53, v21
	ds_load_u16 v54, v20
	;; [unrolled: 1-line block ×3, first 2 shown]
	ds_load_u16 v57, v17 offset:1716
	ds_load_u16 v58, v17 offset:1248
	;; [unrolled: 1-line block ×3, first 2 shown]
	global_wb scope:SCOPE_SE
	s_wait_dscnt 0x0
	s_barrier_signal -1
	s_barrier_wait -1
	global_inv scope:SCOPE_SE
	ds_store_b16 v40, v56
	ds_store_b16 v40, v49 offset:104
	ds_store_b16 v23, v46
	ds_store_b16 v23, v31 offset:104
	;; [unrolled: 2-line block ×6, first 2 shown]
	global_wb scope:SCOPE_SE
	s_wait_dscnt 0x0
	s_barrier_signal -1
	s_barrier_wait -1
	global_inv scope:SCOPE_SE
	global_load_b64 v[23:24], v[14:15], off offset:408
	v_lshlrev_b32_e32 v27, 3, v38
	s_clause 0x2
	global_load_b64 v[10:11], v[10:11], off offset:408
	global_load_b64 v[25:26], v47, s[8:9] offset:408
	global_load_b64 v[27:28], v27, s[8:9] offset:408
	s_wait_alu 0xf1ff
	v_cndmask_b32_e64 v31, 0, 0x270, s0
	v_lshlrev_b32_e32 v36, 1, v37
	v_lshlrev_b32_e32 v37, 1, v38
	s_delay_alu instid0(VALU_DEP_3) | instskip(NEXT) | instid1(VALU_DEP_3)
	v_add_nc_u32_e32 v31, 0, v31
	v_add3_u32 v6, v6, v36, v8
	s_delay_alu instid0(VALU_DEP_2) | instskip(NEXT) | instid1(VALU_DEP_4)
	v_add3_u32 v38, v31, v12, v8
	v_add3_u32 v8, 0, v37, v8
	ds_load_u16 v12, v21
	ds_load_u16 v31, v22
	;; [unrolled: 1-line block ×4, first 2 shown]
	ds_load_u16 v39, v17 offset:936
	ds_load_u16 v40, v17 offset:1248
	;; [unrolled: 1-line block ×4, first 2 shown]
	ds_load_u16 v43, v20
	ds_load_u16 v44, v18
	ds_load_u16 v45, v17 offset:1716
	ds_load_u16 v46, v17 offset:1092
	global_wb scope:SCOPE_SE
	s_wait_loadcnt_dscnt 0x0
	s_barrier_signal -1
	s_barrier_wait -1
	global_inv scope:SCOPE_SE
	v_lshrrev_b32_e32 v47, 16, v23
	v_lshrrev_b32_e32 v48, 16, v24
	;; [unrolled: 1-line block ×8, first 2 shown]
	v_mul_f16_e32 v61, v12, v47
	v_mul_f16_e32 v47, v53, v47
	;; [unrolled: 1-line block ×16, first 2 shown]
	v_fma_f16 v53, v53, v23, -v61
	v_fmac_f16_e32 v47, v12, v23
	v_fma_f16 v12, v58, v24, -v62
	v_fmac_f16_e32 v48, v40, v24
	;; [unrolled: 2-line block ×6, first 2 shown]
	v_fma_f16 v25, v59, v27, -v67
	v_fma_f16 v26, v57, v28, -v68
	v_fmac_f16_e32 v56, v46, v27
	v_fmac_f16_e32 v60, v45, v28
	v_add_f16_e32 v28, v53, v12
	v_sub_f16_e32 v29, v47, v48
	v_add_f16_e32 v31, v37, v47
	v_add_f16_e32 v33, v47, v48
	v_add_f16_e32 v39, v23, v10
	v_sub_f16_e32 v40, v49, v50
	v_add_f16_e32 v41, v44, v49
	v_add_f16_e32 v42, v49, v50
	v_add_f16_e32 v46, v11, v24
	v_sub_f16_e32 v47, v51, v52
	v_add_f16_e32 v49, v36, v51
	v_add_f16_e32 v51, v51, v52
	v_add_f16_e32 v57, v25, v26
	v_add_f16_e32 v27, v32, v53
	v_sub_f16_e32 v58, v56, v60
	v_add_f16_e32 v59, v43, v56
	v_add_f16_e32 v56, v56, v60
	v_fmac_f16_e32 v32, -0.5, v28
	v_add_f16_e32 v35, v55, v23
	v_sub_f16_e32 v34, v53, v12
	v_sub_f16_e32 v23, v23, v10
	v_add_f16_e32 v45, v30, v11
	v_sub_f16_e32 v11, v11, v24
	v_add_f16_e32 v53, v54, v25
	v_fmac_f16_e32 v37, -0.5, v33
	v_fmac_f16_e32 v55, -0.5, v39
	;; [unrolled: 1-line block ×6, first 2 shown]
	v_sub_f16_e32 v25, v25, v26
	v_add_f16_e32 v12, v27, v12
	v_fmac_f16_e32 v43, -0.5, v56
	v_fmamk_f16 v27, v29, 0x3aee, v32
	v_fmac_f16_e32 v32, 0xbaee, v29
	v_add_f16_e32 v10, v35, v10
	v_add_f16_e32 v33, v41, v50
	;; [unrolled: 1-line block ×4, first 2 shown]
	v_fmamk_f16 v41, v34, 0xbaee, v37
	v_fmac_f16_e32 v37, 0x3aee, v34
	v_fmamk_f16 v28, v40, 0x3aee, v55
	v_fmac_f16_e32 v55, 0xbaee, v40
	;; [unrolled: 2-line block ×5, first 2 shown]
	v_fmamk_f16 v11, v58, 0x3aee, v54
	v_add_f16_e32 v48, v31, v48
	v_fmac_f16_e32 v54, 0xbaee, v58
	v_fmamk_f16 v42, v25, 0xbaee, v43
	v_fmac_f16_e32 v43, 0x3aee, v25
	ds_store_b16 v17, v12
	ds_store_b16 v17, v27 offset:208
	ds_store_b16 v17, v32 offset:416
	ds_store_b16 v38, v10
	ds_store_b16 v38, v28 offset:208
	ds_store_b16 v38, v55 offset:416
	;; [unrolled: 3-line block ×3, first 2 shown]
	ds_store_b16 v8, v26 offset:1248
	ds_store_b16 v8, v11 offset:1456
	;; [unrolled: 1-line block ×3, first 2 shown]
	global_wb scope:SCOPE_SE
	s_wait_dscnt 0x0
	s_barrier_signal -1
	s_barrier_wait -1
	global_inv scope:SCOPE_SE
	ds_load_u16 v25, v22
	ds_load_u16 v12, v19
	;; [unrolled: 1-line block ×3, first 2 shown]
	ds_load_u16 v29, v17 offset:936
	ds_load_u16 v27, v17 offset:1404
	;; [unrolled: 1-line block ×3, first 2 shown]
	ds_load_u16 v26, v21
	ds_load_u16 v24, v20
	;; [unrolled: 1-line block ×3, first 2 shown]
	ds_load_u16 v31, v17 offset:1716
	ds_load_u16 v28, v17 offset:1248
	;; [unrolled: 1-line block ×3, first 2 shown]
	v_add_f16_e32 v35, v49, v52
	v_add_f16_e32 v39, v59, v60
	global_wb scope:SCOPE_SE
	s_wait_dscnt 0x0
	s_barrier_signal -1
	s_barrier_wait -1
	global_inv scope:SCOPE_SE
	ds_store_b16 v17, v48
	ds_store_b16 v17, v41 offset:208
	ds_store_b16 v17, v37 offset:416
	ds_store_b16 v38, v33
	ds_store_b16 v38, v34 offset:208
	ds_store_b16 v38, v44 offset:416
	;; [unrolled: 3-line block ×3, first 2 shown]
	ds_store_b16 v8, v39 offset:1248
	ds_store_b16 v8, v42 offset:1456
	;; [unrolled: 1-line block ×3, first 2 shown]
	global_wb scope:SCOPE_SE
	s_wait_dscnt 0x0
	s_barrier_signal -1
	s_barrier_wait -1
	global_inv scope:SCOPE_SE
	s_and_saveexec_b32 s0, vcc_lo
	s_cbranch_execz .LBB0_22
; %bb.21:
	v_mov_b32_e32 v10, v13
	v_mov_b32_e32 v8, v13
	;; [unrolled: 1-line block ×3, first 2 shown]
	v_mul_lo_u32 v33, s2, v4
	s_delay_alu instid0(VALU_DEP_4) | instskip(NEXT) | instid1(VALU_DEP_4)
	v_lshlrev_b64_e32 v[9:10], 2, v[9:10]
	v_lshlrev_b64_e32 v[7:8], 2, v[7:8]
	s_delay_alu instid0(VALU_DEP_4) | instskip(NEXT) | instid1(VALU_DEP_3)
	v_lshlrev_b64_e32 v[5:6], 2, v[5:6]
	v_add_co_u32 v9, vcc_lo, s8, v9
	s_wait_alu 0xfffd
	s_delay_alu instid0(VALU_DEP_4) | instskip(NEXT) | instid1(VALU_DEP_4)
	v_add_co_ci_u32_e32 v10, vcc_lo, s9, v10, vcc_lo
	v_add_co_u32 v7, vcc_lo, s8, v7
	s_wait_alu 0xfffd
	v_add_co_ci_u32_e32 v8, vcc_lo, s9, v8, vcc_lo
	v_add_co_u32 v5, vcc_lo, s8, v5
	s_wait_alu 0xfffd
	v_add_co_ci_u32_e32 v6, vcc_lo, s9, v6, vcc_lo
	s_clause 0x3
	global_load_b64 v[9:10], v[9:10], off offset:1240
	global_load_b64 v[7:8], v[7:8], off offset:1240
	;; [unrolled: 1-line block ×4, first 2 shown]
	ds_load_u16 v56, v22
	ds_load_u16 v57, v21
	;; [unrolled: 1-line block ×4, first 2 shown]
	v_lshrrev_b32_e32 v19, 3, v16
	v_mul_lo_u32 v15, s3, v3
	v_mad_co_u64_u32 v[3:4], null, s2, v3, 0
	ds_load_u16 v60, v18
	v_mul_hi_u32 v18, 0x1a41a41b, v19
	ds_load_u16 v61, v17 offset:1716
	ds_load_u16 v62, v17 offset:1560
	;; [unrolled: 1-line block ×6, first 2 shown]
	ds_load_u16 v67, v0
	v_lshlrev_b64_e32 v[0:1], 2, v[1:2]
	v_add_nc_u32_e32 v21, 0x9c, v16
	v_add3_u32 v4, v4, v33, v15
	v_add_nc_u32_e32 v22, 0xea, v16
	v_lshrrev_b32_e32 v18, 2, v18
	s_delay_alu instid0(VALU_DEP_4) | instskip(NEXT) | instid1(VALU_DEP_4)
	v_lshrrev_b32_e32 v34, 3, v21
	v_lshlrev_b64_e32 v[2:3], 2, v[3:4]
	s_delay_alu instid0(VALU_DEP_4) | instskip(NEXT) | instid1(VALU_DEP_4)
	v_lshrrev_b32_e32 v35, 3, v22
	v_mul_u32_u24_e32 v4, 0x138, v18
	s_delay_alu instid0(VALU_DEP_3) | instskip(NEXT) | instid1(VALU_DEP_2)
	v_add_co_u32 v2, vcc_lo, s6, v2
	v_sub_nc_u32_e32 v4, v16, v4
	s_wait_alu 0xfffd
	v_add_co_ci_u32_e32 v3, vcc_lo, s7, v3, vcc_lo
	s_delay_alu instid0(VALU_DEP_3) | instskip(NEXT) | instid1(VALU_DEP_3)
	v_add_co_u32 v68, vcc_lo, v2, v0
	v_add_nc_u32_e32 v46, 0x138, v4
	s_wait_alu 0xfffd
	s_delay_alu instid0(VALU_DEP_3) | instskip(SKIP_4) | instid1(VALU_DEP_1)
	v_add_co_ci_u32_e32 v69, vcc_lo, v3, v1, vcc_lo
	v_mul_hi_u32 v33, 0x1a41a41b, v35
	v_mad_co_u64_u32 v[0:1], null, s16, v4, 0
	v_mad_co_u64_u32 v[2:3], null, s16, v46, 0
	v_add_nc_u32_e32 v20, 0x4e, v16
	v_lshrrev_b32_e32 v19, 3, v20
	s_delay_alu instid0(VALU_DEP_1) | instskip(SKIP_1) | instid1(VALU_DEP_2)
	v_mul_hi_u32 v15, 0x1a41a41b, v19
	v_mul_hi_u32 v19, 0x1a41a41b, v34
	v_lshrrev_b32_e32 v17, 2, v15
	s_delay_alu instid0(VALU_DEP_2) | instskip(SKIP_1) | instid1(VALU_DEP_3)
	v_lshrrev_b32_e32 v18, 2, v19
	v_lshrrev_b32_e32 v19, 2, v33
	v_mul_u32_u24_e32 v15, 0x138, v17
	s_delay_alu instid0(VALU_DEP_3) | instskip(NEXT) | instid1(VALU_DEP_3)
	v_mul_u32_u24_e32 v16, 0x138, v18
	v_mul_u32_u24_e32 v33, 0x138, v19
	s_delay_alu instid0(VALU_DEP_2) | instskip(NEXT) | instid1(VALU_DEP_2)
	v_sub_nc_u32_e32 v21, v21, v16
	v_sub_nc_u32_e32 v22, v22, v33
	v_mad_co_u64_u32 v[33:34], null, s17, v4, v[1:2]
	v_dual_mov_b32 v1, v3 :: v_dual_add_nc_u32 v48, 0x270, v4
	s_delay_alu instid0(VALU_DEP_3) | instskip(SKIP_2) | instid1(VALU_DEP_4)
	v_mad_u32_u24 v51, 0x3a8, v19, v22
	v_sub_nc_u32_e32 v20, v20, v15
	v_mad_u32_u24 v50, 0x3a8, v18, v21
	v_mad_co_u64_u32 v[46:47], null, s17, v46, v[1:2]
	v_mov_b32_e32 v1, v33
	v_mad_co_u64_u32 v[15:16], null, s16, v48, 0
	v_add_nc_u32_e32 v70, 0x138, v51
	v_mad_u32_u24 v49, 0x3a8, v17, v20
	v_mad_co_u64_u32 v[19:20], null, s16, v50, 0
	v_add_nc_u32_e32 v71, 0x270, v51
	s_delay_alu instid0(VALU_DEP_4) | instskip(NEXT) | instid1(VALU_DEP_4)
	v_mad_co_u64_u32 v[42:43], null, s16, v70, 0
	v_dual_mov_b32 v3, v16 :: v_dual_add_nc_u32 v52, 0x138, v49
	v_mad_co_u64_u32 v[17:18], null, s16, v49, 0
	v_mad_co_u64_u32 v[21:22], null, s16, v51, 0
	s_delay_alu instid0(VALU_DEP_4) | instskip(NEXT) | instid1(VALU_DEP_4)
	v_mov_b32_e32 v33, v43
	v_mad_co_u64_u32 v[34:35], null, s16, v52, 0
	v_mad_co_u64_u32 v[47:48], null, s17, v48, v[3:4]
	v_mov_b32_e32 v4, v20
	v_mad_co_u64_u32 v[44:45], null, s16, v71, 0
	v_dual_mov_b32 v3, v18 :: v_dual_add_nc_u32 v54, 0x138, v50
	v_dual_mov_b32 v18, v35 :: v_dual_add_nc_u32 v53, 0x270, v49
	v_add_nc_u32_e32 v55, 0x270, v50
	v_lshlrev_b64_e32 v[0:1], 2, v[0:1]
	v_mov_b32_e32 v35, v45
	v_mad_co_u64_u32 v[38:39], null, s16, v54, 0
	v_mad_co_u64_u32 v[48:49], null, s17, v49, v[3:4]
	v_mov_b32_e32 v3, v46
	v_mad_co_u64_u32 v[45:46], null, s17, v52, v[18:19]
	v_mov_b32_e32 v16, v22
	v_mad_co_u64_u32 v[36:37], null, s16, v53, 0
	v_mad_co_u64_u32 v[40:41], null, s16, v55, 0
	v_lshlrev_b64_e32 v[2:3], 2, v[2:3]
	v_mov_b32_e32 v18, v48
	v_add_co_u32 v0, vcc_lo, v68, v0
	s_wait_alu 0xfffd
	v_add_co_ci_u32_e32 v1, vcc_lo, v69, v1, vcc_lo
	v_mov_b32_e32 v22, v41
	v_add_co_u32 v2, vcc_lo, v68, v2
	s_wait_alu 0xfffd
	v_add_co_ci_u32_e32 v3, vcc_lo, v69, v3, vcc_lo
	s_wait_loadcnt 0x1
	v_mad_co_u64_u32 v[49:50], null, s17, v50, v[4:5]
	v_mov_b32_e32 v4, v39
	v_mad_co_u64_u32 v[50:51], null, s17, v51, v[16:17]
	v_mov_b32_e32 v16, v47
	v_lshlrev_b64_e32 v[17:18], 2, v[17:18]
	s_delay_alu instid0(VALU_DEP_4) | instskip(SKIP_3) | instid1(VALU_DEP_4)
	v_mad_co_u64_u32 v[51:52], null, s17, v54, v[4:5]
	v_mov_b32_e32 v20, v37
	v_lshrrev_b32_e32 v4, 16, v9
	v_lshrrev_b32_e32 v48, 16, v5
	v_mov_b32_e32 v39, v51
	s_delay_alu instid0(VALU_DEP_4)
	v_mad_co_u64_u32 v[46:47], null, s17, v53, v[20:21]
	v_mad_co_u64_u32 v[52:53], null, s17, v55, v[22:23]
	;; [unrolled: 1-line block ×4, first 2 shown]
	v_dual_mov_b32 v35, v45 :: v_dual_mov_b32 v20, v49
	v_dual_mov_b32 v22, v50 :: v_dual_mov_b32 v37, v46
	v_mov_b32_e32 v41, v52
	s_delay_alu instid0(VALU_DEP_3)
	v_lshlrev_b64_e32 v[33:34], 2, v[34:35]
	v_mov_b32_e32 v45, v54
	v_lshlrev_b64_e32 v[15:16], 2, v[15:16]
	v_lshlrev_b64_e32 v[19:20], 2, v[19:20]
	;; [unrolled: 1-line block ×5, first 2 shown]
	v_mov_b32_e32 v43, v53
	v_add_co_u32 v15, vcc_lo, v68, v15
	s_wait_alu 0xfffd
	v_add_co_ci_u32_e32 v16, vcc_lo, v69, v16, vcc_lo
	v_add_co_u32 v17, vcc_lo, v68, v17
	s_wait_alu 0xfffd
	v_add_co_ci_u32_e32 v18, vcc_lo, v69, v18, vcc_lo
	;; [unrolled: 3-line block ×5, first 2 shown]
	v_lshlrev_b64_e32 v[39:40], 2, v[40:41]
	v_add_co_u32 v35, vcc_lo, v68, v35
	s_wait_alu 0xfffd
	v_add_co_ci_u32_e32 v36, vcc_lo, v69, v36, vcc_lo
	v_lshlrev_b64_e32 v[41:42], 2, v[42:43]
	v_add_co_u32 v37, vcc_lo, v68, v37
	s_wait_alu 0xfffd
	v_add_co_ci_u32_e32 v38, vcc_lo, v69, v38, vcc_lo
	;; [unrolled: 4-line block ×3, first 2 shown]
	v_add_co_u32 v41, vcc_lo, v68, v41
	v_lshrrev_b32_e32 v45, 16, v10
	v_lshrrev_b32_e32 v46, 16, v7
	;; [unrolled: 1-line block ×4, first 2 shown]
	s_wait_loadcnt 0x0
	v_lshrrev_b32_e32 v50, 16, v13
	v_lshrrev_b32_e32 v51, 16, v14
	s_wait_alu 0xfffd
	v_add_co_ci_u32_e32 v42, vcc_lo, v69, v42, vcc_lo
	v_add_co_u32 v43, vcc_lo, v68, v43
	s_wait_alu 0xfffd
	v_add_co_ci_u32_e32 v44, vcc_lo, v69, v44, vcc_lo
	s_wait_dscnt 0x2
	v_mul_f16_e32 v52, v65, v4
	v_mul_f16_e32 v53, v61, v45
	;; [unrolled: 1-line block ×4, first 2 shown]
	s_wait_dscnt 0x1
	v_mul_f16_e32 v54, v66, v46
	v_mul_f16_e32 v55, v62, v47
	;; [unrolled: 1-line block ×12, first 2 shown]
	v_fma_f16 v32, v32, v9, -v52
	v_fma_f16 v31, v31, v10, -v53
	v_fmac_f16_e32 v4, v9, v65
	v_fmac_f16_e32 v45, v10, v61
	v_fma_f16 v9, v29, v7, -v54
	v_fma_f16 v10, v30, v8, -v55
	v_fmac_f16_e32 v46, v7, v66
	v_fmac_f16_e32 v47, v8, v62
	;; [unrolled: 4-line block ×4, first 2 shown]
	v_add_f16_e32 v25, v32, v31
	v_add_f16_e32 v27, v24, v32
	v_sub_f16_e32 v52, v7, v8
	v_add_f16_e32 v54, v7, v8
	v_add_f16_e32 v7, v23, v7
	v_sub_f16_e32 v56, v5, v6
	;; [unrolled: 3-line block ×3, first 2 shown]
	s_wait_dscnt 0x0
	v_add_f16_e32 v50, v50, v67
	v_add_f16_e32 v5, v11, v5
	;; [unrolled: 1-line block ×3, first 2 shown]
	v_sub_f16_e32 v28, v9, v10
	v_add_f16_e32 v29, v46, v47
	v_add_f16_e32 v30, v9, v10
	;; [unrolled: 1-line block ×4, first 2 shown]
	v_sub_f16_e32 v13, v32, v31
	v_sub_f16_e32 v32, v46, v47
	v_add_f16_e32 v46, v46, v59
	v_fma_f16 v24, -0.5, v25, v24
	v_add_f16_e32 v25, v27, v31
	v_add_f16_e32 v7, v7, v8
	v_fma_f16 v8, -0.5, v57, v67
	v_fma_f16 v11, -0.5, v61, v11
	v_add_f16_e32 v31, v51, v50
	v_add_f16_e32 v5, v5, v6
	v_sub_f16_e32 v55, v48, v49
	v_add_f16_e32 v48, v48, v60
	v_sub_f16_e32 v26, v4, v45
	v_add_f16_e32 v4, v4, v58
	v_fma_f16 v14, -0.5, v14, v58
	v_fma_f16 v27, -0.5, v29, v59
	;; [unrolled: 1-line block ×3, first 2 shown]
	v_add_f16_e32 v9, v9, v10
	v_fma_f16 v10, -0.5, v53, v60
	v_fma_f16 v23, -0.5, v54, v23
	v_add_f16_e32 v29, v47, v46
	v_fmamk_f16 v46, v56, 0x3aee, v8
	v_fmamk_f16 v47, v62, 0xbaee, v11
	v_fmac_f16_e32 v8, 0xbaee, v56
	v_pack_b32_f16 v5, v5, v31
	v_fmac_f16_e32 v11, 0x3aee, v62
	v_add_f16_e32 v30, v49, v48
	v_add_f16_e32 v4, v45, v4
	v_fmamk_f16 v6, v13, 0x3aee, v14
	v_fmamk_f16 v45, v26, 0xbaee, v24
	v_fmac_f16_e32 v14, 0xbaee, v13
	v_fmac_f16_e32 v24, 0x3aee, v26
	v_fmamk_f16 v13, v28, 0x3aee, v27
	v_fmamk_f16 v26, v32, 0xbaee, v12
	v_fmac_f16_e32 v27, 0xbaee, v28
	v_fmac_f16_e32 v12, 0x3aee, v32
	;; [unrolled: 4-line block ×3, first 2 shown]
	global_store_b32 v[0:1], v5, off
	v_pack_b32_f16 v0, v11, v8
	v_pack_b32_f16 v1, v47, v46
	;; [unrolled: 1-line block ×11, first 2 shown]
	s_clause 0xa
	global_store_b32 v[2:3], v0, off
	global_store_b32 v[15:16], v1, off
	;; [unrolled: 1-line block ×11, first 2 shown]
.LBB0_22:
	s_nop 0
	s_sendmsg sendmsg(MSG_DEALLOC_VGPRS)
	s_endpgm
	.section	.rodata,"a",@progbits
	.p2align	6, 0x0
	.amdhsa_kernel fft_rtc_fwd_len936_factors_2_2_13_2_3_3_wgs_234_tpt_78_halfLds_half_op_CI_CI_sbrr_dirReg
		.amdhsa_group_segment_fixed_size 0
		.amdhsa_private_segment_fixed_size 0
		.amdhsa_kernarg_size 104
		.amdhsa_user_sgpr_count 2
		.amdhsa_user_sgpr_dispatch_ptr 0
		.amdhsa_user_sgpr_queue_ptr 0
		.amdhsa_user_sgpr_kernarg_segment_ptr 1
		.amdhsa_user_sgpr_dispatch_id 0
		.amdhsa_user_sgpr_private_segment_size 0
		.amdhsa_wavefront_size32 1
		.amdhsa_uses_dynamic_stack 0
		.amdhsa_enable_private_segment 0
		.amdhsa_system_sgpr_workgroup_id_x 1
		.amdhsa_system_sgpr_workgroup_id_y 0
		.amdhsa_system_sgpr_workgroup_id_z 0
		.amdhsa_system_sgpr_workgroup_info 0
		.amdhsa_system_vgpr_workitem_id 0
		.amdhsa_next_free_vgpr 89
		.amdhsa_next_free_sgpr 43
		.amdhsa_reserve_vcc 1
		.amdhsa_float_round_mode_32 0
		.amdhsa_float_round_mode_16_64 0
		.amdhsa_float_denorm_mode_32 3
		.amdhsa_float_denorm_mode_16_64 3
		.amdhsa_fp16_overflow 0
		.amdhsa_workgroup_processor_mode 1
		.amdhsa_memory_ordered 1
		.amdhsa_forward_progress 0
		.amdhsa_round_robin_scheduling 0
		.amdhsa_exception_fp_ieee_invalid_op 0
		.amdhsa_exception_fp_denorm_src 0
		.amdhsa_exception_fp_ieee_div_zero 0
		.amdhsa_exception_fp_ieee_overflow 0
		.amdhsa_exception_fp_ieee_underflow 0
		.amdhsa_exception_fp_ieee_inexact 0
		.amdhsa_exception_int_div_zero 0
	.end_amdhsa_kernel
	.text
.Lfunc_end0:
	.size	fft_rtc_fwd_len936_factors_2_2_13_2_3_3_wgs_234_tpt_78_halfLds_half_op_CI_CI_sbrr_dirReg, .Lfunc_end0-fft_rtc_fwd_len936_factors_2_2_13_2_3_3_wgs_234_tpt_78_halfLds_half_op_CI_CI_sbrr_dirReg
                                        ; -- End function
	.section	.AMDGPU.csdata,"",@progbits
; Kernel info:
; codeLenInByte = 12560
; NumSgprs: 45
; NumVgprs: 89
; ScratchSize: 0
; MemoryBound: 0
; FloatMode: 240
; IeeeMode: 1
; LDSByteSize: 0 bytes/workgroup (compile time only)
; SGPRBlocks: 5
; VGPRBlocks: 11
; NumSGPRsForWavesPerEU: 45
; NumVGPRsForWavesPerEU: 89
; Occupancy: 16
; WaveLimiterHint : 1
; COMPUTE_PGM_RSRC2:SCRATCH_EN: 0
; COMPUTE_PGM_RSRC2:USER_SGPR: 2
; COMPUTE_PGM_RSRC2:TRAP_HANDLER: 0
; COMPUTE_PGM_RSRC2:TGID_X_EN: 1
; COMPUTE_PGM_RSRC2:TGID_Y_EN: 0
; COMPUTE_PGM_RSRC2:TGID_Z_EN: 0
; COMPUTE_PGM_RSRC2:TIDIG_COMP_CNT: 0
	.text
	.p2alignl 7, 3214868480
	.fill 96, 4, 3214868480
	.type	__hip_cuid_4a077613e92c510f,@object ; @__hip_cuid_4a077613e92c510f
	.section	.bss,"aw",@nobits
	.globl	__hip_cuid_4a077613e92c510f
__hip_cuid_4a077613e92c510f:
	.byte	0                               ; 0x0
	.size	__hip_cuid_4a077613e92c510f, 1

	.ident	"AMD clang version 19.0.0git (https://github.com/RadeonOpenCompute/llvm-project roc-6.4.0 25133 c7fe45cf4b819c5991fe208aaa96edf142730f1d)"
	.section	".note.GNU-stack","",@progbits
	.addrsig
	.addrsig_sym __hip_cuid_4a077613e92c510f
	.amdgpu_metadata
---
amdhsa.kernels:
  - .args:
      - .actual_access:  read_only
        .address_space:  global
        .offset:         0
        .size:           8
        .value_kind:     global_buffer
      - .offset:         8
        .size:           8
        .value_kind:     by_value
      - .actual_access:  read_only
        .address_space:  global
        .offset:         16
        .size:           8
        .value_kind:     global_buffer
      - .actual_access:  read_only
        .address_space:  global
        .offset:         24
        .size:           8
        .value_kind:     global_buffer
      - .actual_access:  read_only
        .address_space:  global
        .offset:         32
        .size:           8
        .value_kind:     global_buffer
      - .offset:         40
        .size:           8
        .value_kind:     by_value
      - .actual_access:  read_only
        .address_space:  global
        .offset:         48
        .size:           8
        .value_kind:     global_buffer
      - .actual_access:  read_only
        .address_space:  global
        .offset:         56
        .size:           8
        .value_kind:     global_buffer
      - .offset:         64
        .size:           4
        .value_kind:     by_value
      - .actual_access:  read_only
        .address_space:  global
        .offset:         72
        .size:           8
        .value_kind:     global_buffer
      - .actual_access:  read_only
        .address_space:  global
        .offset:         80
        .size:           8
        .value_kind:     global_buffer
      - .actual_access:  read_only
        .address_space:  global
        .offset:         88
        .size:           8
        .value_kind:     global_buffer
      - .actual_access:  write_only
        .address_space:  global
        .offset:         96
        .size:           8
        .value_kind:     global_buffer
    .group_segment_fixed_size: 0
    .kernarg_segment_align: 8
    .kernarg_segment_size: 104
    .language:       OpenCL C
    .language_version:
      - 2
      - 0
    .max_flat_workgroup_size: 234
    .name:           fft_rtc_fwd_len936_factors_2_2_13_2_3_3_wgs_234_tpt_78_halfLds_half_op_CI_CI_sbrr_dirReg
    .private_segment_fixed_size: 0
    .sgpr_count:     45
    .sgpr_spill_count: 0
    .symbol:         fft_rtc_fwd_len936_factors_2_2_13_2_3_3_wgs_234_tpt_78_halfLds_half_op_CI_CI_sbrr_dirReg.kd
    .uniform_work_group_size: 1
    .uses_dynamic_stack: false
    .vgpr_count:     89
    .vgpr_spill_count: 0
    .wavefront_size: 32
    .workgroup_processor_mode: 1
amdhsa.target:   amdgcn-amd-amdhsa--gfx1201
amdhsa.version:
  - 1
  - 2
...

	.end_amdgpu_metadata
